;; amdgpu-corpus repo=ROCm/rocFFT kind=compiled arch=gfx1201 opt=O3
	.text
	.amdgcn_target "amdgcn-amd-amdhsa--gfx1201"
	.amdhsa_code_object_version 6
	.protected	fft_rtc_back_len1530_factors_17_3_6_5_wgs_102_tpt_102_halfLds_half_ip_CI_unitstride_sbrr_R2C_dirReg ; -- Begin function fft_rtc_back_len1530_factors_17_3_6_5_wgs_102_tpt_102_halfLds_half_ip_CI_unitstride_sbrr_R2C_dirReg
	.globl	fft_rtc_back_len1530_factors_17_3_6_5_wgs_102_tpt_102_halfLds_half_ip_CI_unitstride_sbrr_R2C_dirReg
	.p2align	8
	.type	fft_rtc_back_len1530_factors_17_3_6_5_wgs_102_tpt_102_halfLds_half_ip_CI_unitstride_sbrr_R2C_dirReg,@function
fft_rtc_back_len1530_factors_17_3_6_5_wgs_102_tpt_102_halfLds_half_ip_CI_unitstride_sbrr_R2C_dirReg: ; @fft_rtc_back_len1530_factors_17_3_6_5_wgs_102_tpt_102_halfLds_half_ip_CI_unitstride_sbrr_R2C_dirReg
; %bb.0:
	s_clause 0x2
	s_load_b128 s[4:7], s[0:1], 0x0
	s_load_b64 s[8:9], s[0:1], 0x50
	s_load_b64 s[10:11], s[0:1], 0x18
	v_mul_u32_u24_e32 v1, 0x283, v0
	v_mov_b32_e32 v3, 0
	s_delay_alu instid0(VALU_DEP_2) | instskip(NEXT) | instid1(VALU_DEP_1)
	v_lshrrev_b32_e32 v1, 16, v1
	v_add_nc_u32_e32 v5, ttmp9, v1
	v_mov_b32_e32 v1, 0
	v_mov_b32_e32 v2, 0
	;; [unrolled: 1-line block ×3, first 2 shown]
	s_wait_kmcnt 0x0
	v_cmp_lt_u64_e64 s2, s[6:7], 2
	s_delay_alu instid0(VALU_DEP_1)
	s_and_b32 vcc_lo, exec_lo, s2
	s_cbranch_vccnz .LBB0_8
; %bb.1:
	s_load_b64 s[2:3], s[0:1], 0x10
	v_mov_b32_e32 v1, 0
	v_mov_b32_e32 v2, 0
	s_add_nc_u64 s[12:13], s[10:11], 8
	s_mov_b64 s[14:15], 1
	s_wait_kmcnt 0x0
	s_add_nc_u64 s[16:17], s[2:3], 8
	s_mov_b32 s3, 0
.LBB0_2:                                ; =>This Inner Loop Header: Depth=1
	s_load_b64 s[18:19], s[16:17], 0x0
                                        ; implicit-def: $vgpr7_vgpr8
	s_mov_b32 s2, exec_lo
	s_wait_kmcnt 0x0
	v_or_b32_e32 v4, s19, v6
	s_delay_alu instid0(VALU_DEP_1)
	v_cmpx_ne_u64_e32 0, v[3:4]
	s_wait_alu 0xfffe
	s_xor_b32 s20, exec_lo, s2
	s_cbranch_execz .LBB0_4
; %bb.3:                                ;   in Loop: Header=BB0_2 Depth=1
	s_cvt_f32_u32 s2, s18
	s_cvt_f32_u32 s21, s19
	s_sub_nc_u64 s[24:25], 0, s[18:19]
	s_wait_alu 0xfffe
	s_delay_alu instid0(SALU_CYCLE_1) | instskip(SKIP_1) | instid1(SALU_CYCLE_2)
	s_fmamk_f32 s2, s21, 0x4f800000, s2
	s_wait_alu 0xfffe
	v_s_rcp_f32 s2, s2
	s_delay_alu instid0(TRANS32_DEP_1) | instskip(SKIP_1) | instid1(SALU_CYCLE_2)
	s_mul_f32 s2, s2, 0x5f7ffffc
	s_wait_alu 0xfffe
	s_mul_f32 s21, s2, 0x2f800000
	s_wait_alu 0xfffe
	s_delay_alu instid0(SALU_CYCLE_2) | instskip(SKIP_1) | instid1(SALU_CYCLE_2)
	s_trunc_f32 s21, s21
	s_wait_alu 0xfffe
	s_fmamk_f32 s2, s21, 0xcf800000, s2
	s_cvt_u32_f32 s23, s21
	s_wait_alu 0xfffe
	s_delay_alu instid0(SALU_CYCLE_1) | instskip(SKIP_1) | instid1(SALU_CYCLE_2)
	s_cvt_u32_f32 s22, s2
	s_wait_alu 0xfffe
	s_mul_u64 s[26:27], s[24:25], s[22:23]
	s_wait_alu 0xfffe
	s_mul_hi_u32 s29, s22, s27
	s_mul_i32 s28, s22, s27
	s_mul_hi_u32 s2, s22, s26
	s_mul_i32 s30, s23, s26
	s_wait_alu 0xfffe
	s_add_nc_u64 s[28:29], s[2:3], s[28:29]
	s_mul_hi_u32 s21, s23, s26
	s_mul_hi_u32 s31, s23, s27
	s_add_co_u32 s2, s28, s30
	s_wait_alu 0xfffe
	s_add_co_ci_u32 s2, s29, s21
	s_mul_i32 s26, s23, s27
	s_add_co_ci_u32 s27, s31, 0
	s_wait_alu 0xfffe
	s_add_nc_u64 s[26:27], s[2:3], s[26:27]
	s_wait_alu 0xfffe
	v_add_co_u32 v4, s2, s22, s26
	s_delay_alu instid0(VALU_DEP_1) | instskip(SKIP_1) | instid1(VALU_DEP_1)
	s_cmp_lg_u32 s2, 0
	s_add_co_ci_u32 s23, s23, s27
	v_readfirstlane_b32 s22, v4
	s_wait_alu 0xfffe
	s_delay_alu instid0(VALU_DEP_1)
	s_mul_u64 s[24:25], s[24:25], s[22:23]
	s_wait_alu 0xfffe
	s_mul_hi_u32 s27, s22, s25
	s_mul_i32 s26, s22, s25
	s_mul_hi_u32 s2, s22, s24
	s_mul_i32 s28, s23, s24
	s_wait_alu 0xfffe
	s_add_nc_u64 s[26:27], s[2:3], s[26:27]
	s_mul_hi_u32 s21, s23, s24
	s_mul_hi_u32 s22, s23, s25
	s_wait_alu 0xfffe
	s_add_co_u32 s2, s26, s28
	s_add_co_ci_u32 s2, s27, s21
	s_mul_i32 s24, s23, s25
	s_add_co_ci_u32 s25, s22, 0
	s_wait_alu 0xfffe
	s_add_nc_u64 s[24:25], s[2:3], s[24:25]
	s_wait_alu 0xfffe
	v_add_co_u32 v4, s2, v4, s24
	s_delay_alu instid0(VALU_DEP_1) | instskip(SKIP_1) | instid1(VALU_DEP_1)
	s_cmp_lg_u32 s2, 0
	s_add_co_ci_u32 s2, s23, s25
	v_mul_hi_u32 v13, v5, v4
	s_wait_alu 0xfffe
	v_mad_co_u64_u32 v[7:8], null, v5, s2, 0
	v_mad_co_u64_u32 v[9:10], null, v6, v4, 0
	;; [unrolled: 1-line block ×3, first 2 shown]
	s_delay_alu instid0(VALU_DEP_3) | instskip(SKIP_1) | instid1(VALU_DEP_4)
	v_add_co_u32 v4, vcc_lo, v13, v7
	s_wait_alu 0xfffd
	v_add_co_ci_u32_e32 v7, vcc_lo, 0, v8, vcc_lo
	s_delay_alu instid0(VALU_DEP_2) | instskip(SKIP_1) | instid1(VALU_DEP_2)
	v_add_co_u32 v4, vcc_lo, v4, v9
	s_wait_alu 0xfffd
	v_add_co_ci_u32_e32 v4, vcc_lo, v7, v10, vcc_lo
	s_wait_alu 0xfffd
	v_add_co_ci_u32_e32 v7, vcc_lo, 0, v12, vcc_lo
	s_delay_alu instid0(VALU_DEP_2) | instskip(SKIP_1) | instid1(VALU_DEP_2)
	v_add_co_u32 v4, vcc_lo, v4, v11
	s_wait_alu 0xfffd
	v_add_co_ci_u32_e32 v9, vcc_lo, 0, v7, vcc_lo
	s_delay_alu instid0(VALU_DEP_2) | instskip(SKIP_1) | instid1(VALU_DEP_3)
	v_mul_lo_u32 v10, s19, v4
	v_mad_co_u64_u32 v[7:8], null, s18, v4, 0
	v_mul_lo_u32 v11, s18, v9
	s_delay_alu instid0(VALU_DEP_2) | instskip(NEXT) | instid1(VALU_DEP_2)
	v_sub_co_u32 v7, vcc_lo, v5, v7
	v_add3_u32 v8, v8, v11, v10
	s_delay_alu instid0(VALU_DEP_1) | instskip(SKIP_1) | instid1(VALU_DEP_1)
	v_sub_nc_u32_e32 v10, v6, v8
	s_wait_alu 0xfffd
	v_subrev_co_ci_u32_e64 v10, s2, s19, v10, vcc_lo
	v_add_co_u32 v11, s2, v4, 2
	s_wait_alu 0xf1ff
	v_add_co_ci_u32_e64 v12, s2, 0, v9, s2
	v_sub_co_u32 v13, s2, v7, s18
	v_sub_co_ci_u32_e32 v8, vcc_lo, v6, v8, vcc_lo
	s_wait_alu 0xf1ff
	v_subrev_co_ci_u32_e64 v10, s2, 0, v10, s2
	s_delay_alu instid0(VALU_DEP_3) | instskip(NEXT) | instid1(VALU_DEP_3)
	v_cmp_le_u32_e32 vcc_lo, s18, v13
	v_cmp_eq_u32_e64 s2, s19, v8
	s_wait_alu 0xfffd
	v_cndmask_b32_e64 v13, 0, -1, vcc_lo
	v_cmp_le_u32_e32 vcc_lo, s19, v10
	s_wait_alu 0xfffd
	v_cndmask_b32_e64 v14, 0, -1, vcc_lo
	v_cmp_le_u32_e32 vcc_lo, s18, v7
	;; [unrolled: 3-line block ×3, first 2 shown]
	s_wait_alu 0xfffd
	v_cndmask_b32_e64 v15, 0, -1, vcc_lo
	v_cmp_eq_u32_e32 vcc_lo, s19, v10
	s_wait_alu 0xf1ff
	s_delay_alu instid0(VALU_DEP_2)
	v_cndmask_b32_e64 v7, v15, v7, s2
	s_wait_alu 0xfffd
	v_cndmask_b32_e32 v10, v14, v13, vcc_lo
	v_add_co_u32 v13, vcc_lo, v4, 1
	s_wait_alu 0xfffd
	v_add_co_ci_u32_e32 v14, vcc_lo, 0, v9, vcc_lo
	s_delay_alu instid0(VALU_DEP_3) | instskip(SKIP_2) | instid1(VALU_DEP_3)
	v_cmp_ne_u32_e32 vcc_lo, 0, v10
	s_wait_alu 0xfffd
	v_cndmask_b32_e32 v10, v13, v11, vcc_lo
	v_cndmask_b32_e32 v8, v14, v12, vcc_lo
	v_cmp_ne_u32_e32 vcc_lo, 0, v7
	s_wait_alu 0xfffd
	s_delay_alu instid0(VALU_DEP_2)
	v_dual_cndmask_b32 v7, v4, v10 :: v_dual_cndmask_b32 v8, v9, v8
.LBB0_4:                                ;   in Loop: Header=BB0_2 Depth=1
	s_wait_alu 0xfffe
	s_and_not1_saveexec_b32 s2, s20
	s_cbranch_execz .LBB0_6
; %bb.5:                                ;   in Loop: Header=BB0_2 Depth=1
	v_cvt_f32_u32_e32 v4, s18
	s_sub_co_i32 s20, 0, s18
	s_delay_alu instid0(VALU_DEP_1) | instskip(NEXT) | instid1(TRANS32_DEP_1)
	v_rcp_iflag_f32_e32 v4, v4
	v_mul_f32_e32 v4, 0x4f7ffffe, v4
	s_delay_alu instid0(VALU_DEP_1) | instskip(SKIP_1) | instid1(VALU_DEP_1)
	v_cvt_u32_f32_e32 v4, v4
	s_wait_alu 0xfffe
	v_mul_lo_u32 v7, s20, v4
	s_delay_alu instid0(VALU_DEP_1) | instskip(NEXT) | instid1(VALU_DEP_1)
	v_mul_hi_u32 v7, v4, v7
	v_add_nc_u32_e32 v4, v4, v7
	s_delay_alu instid0(VALU_DEP_1) | instskip(NEXT) | instid1(VALU_DEP_1)
	v_mul_hi_u32 v4, v5, v4
	v_mul_lo_u32 v7, v4, s18
	v_add_nc_u32_e32 v8, 1, v4
	s_delay_alu instid0(VALU_DEP_2) | instskip(NEXT) | instid1(VALU_DEP_1)
	v_sub_nc_u32_e32 v7, v5, v7
	v_subrev_nc_u32_e32 v9, s18, v7
	v_cmp_le_u32_e32 vcc_lo, s18, v7
	s_wait_alu 0xfffd
	s_delay_alu instid0(VALU_DEP_2) | instskip(NEXT) | instid1(VALU_DEP_1)
	v_dual_cndmask_b32 v7, v7, v9 :: v_dual_cndmask_b32 v4, v4, v8
	v_cmp_le_u32_e32 vcc_lo, s18, v7
	s_delay_alu instid0(VALU_DEP_2) | instskip(SKIP_1) | instid1(VALU_DEP_1)
	v_add_nc_u32_e32 v8, 1, v4
	s_wait_alu 0xfffd
	v_dual_cndmask_b32 v7, v4, v8 :: v_dual_mov_b32 v8, v3
.LBB0_6:                                ;   in Loop: Header=BB0_2 Depth=1
	s_wait_alu 0xfffe
	s_or_b32 exec_lo, exec_lo, s2
	s_load_b64 s[20:21], s[12:13], 0x0
	s_delay_alu instid0(VALU_DEP_1)
	v_mul_lo_u32 v4, v8, s18
	v_mul_lo_u32 v11, v7, s19
	v_mad_co_u64_u32 v[9:10], null, v7, s18, 0
	s_add_nc_u64 s[14:15], s[14:15], 1
	s_add_nc_u64 s[12:13], s[12:13], 8
	s_wait_alu 0xfffe
	v_cmp_ge_u64_e64 s2, s[14:15], s[6:7]
	s_add_nc_u64 s[16:17], s[16:17], 8
	s_delay_alu instid0(VALU_DEP_2) | instskip(NEXT) | instid1(VALU_DEP_3)
	v_add3_u32 v4, v10, v11, v4
	v_sub_co_u32 v5, vcc_lo, v5, v9
	s_wait_alu 0xfffd
	s_delay_alu instid0(VALU_DEP_2) | instskip(SKIP_3) | instid1(VALU_DEP_2)
	v_sub_co_ci_u32_e32 v4, vcc_lo, v6, v4, vcc_lo
	s_and_b32 vcc_lo, exec_lo, s2
	s_wait_kmcnt 0x0
	v_mul_lo_u32 v6, s21, v5
	v_mul_lo_u32 v4, s20, v4
	v_mad_co_u64_u32 v[1:2], null, s20, v5, v[1:2]
	s_delay_alu instid0(VALU_DEP_1)
	v_add3_u32 v2, v6, v2, v4
	s_wait_alu 0xfffe
	s_cbranch_vccnz .LBB0_9
; %bb.7:                                ;   in Loop: Header=BB0_2 Depth=1
	v_dual_mov_b32 v5, v7 :: v_dual_mov_b32 v6, v8
	s_branch .LBB0_2
.LBB0_8:
	v_dual_mov_b32 v8, v6 :: v_dual_mov_b32 v7, v5
.LBB0_9:
	s_lshl_b64 s[2:3], s[6:7], 3
	v_mul_hi_u32 v3, 0x2828283, v0
	s_wait_alu 0xfffe
	s_add_nc_u64 s[2:3], s[10:11], s[2:3]
	s_load_b64 s[2:3], s[2:3], 0x0
	s_load_b64 s[0:1], s[0:1], 0x20
	s_delay_alu instid0(VALU_DEP_1) | instskip(NEXT) | instid1(VALU_DEP_1)
	v_mul_u32_u24_e32 v3, 0x66, v3
	v_sub_nc_u32_e32 v0, v0, v3
	s_delay_alu instid0(VALU_DEP_1)
	v_lshl_add_u32 v25, v0, 2, 0
	s_wait_kmcnt 0x0
	v_mul_lo_u32 v4, s2, v8
	v_mul_lo_u32 v5, s3, v7
	v_mad_co_u64_u32 v[1:2], null, s2, v7, v[1:2]
	v_cmp_gt_u64_e32 vcc_lo, s[0:1], v[7:8]
	s_delay_alu instid0(VALU_DEP_2) | instskip(NEXT) | instid1(VALU_DEP_1)
	v_add3_u32 v2, v5, v2, v4
	v_lshlrev_b64_e32 v[2:3], 2, v[1:2]
	s_and_saveexec_b32 s1, vcc_lo
	s_cbranch_execz .LBB0_11
; %bb.10:
	v_dual_mov_b32 v1, 0 :: v_dual_add_nc_u32 v20, 0x800, v25
	v_add_nc_u32_e32 v19, 0x400, v25
	v_add_nc_u32_e32 v21, 0xc00, v25
	v_add_nc_u32_e32 v22, 0xe00, v25
	s_delay_alu instid0(VALU_DEP_4) | instskip(SKIP_4) | instid1(VALU_DEP_3)
	v_lshlrev_b64_e32 v[4:5], 2, v[0:1]
	v_add_co_u32 v1, s0, s8, v2
	s_wait_alu 0xf1ff
	v_add_co_ci_u32_e64 v6, s0, s9, v3, s0
	v_add_nc_u32_e32 v23, 0x1200, v25
	v_add_co_u32 v4, s0, v1, v4
	s_wait_alu 0xf1ff
	s_delay_alu instid0(VALU_DEP_3)
	v_add_co_ci_u32_e64 v5, s0, v6, v5, s0
	s_clause 0xe
	global_load_b32 v1, v[4:5], off
	global_load_b32 v6, v[4:5], off offset:408
	global_load_b32 v7, v[4:5], off offset:816
	;; [unrolled: 1-line block ×14, first 2 shown]
	v_add_nc_u32_e32 v5, 0x200, v25
	s_wait_loadcnt 0xd
	ds_store_2addr_b32 v25, v1, v6 offset1:102
	s_wait_loadcnt 0xb
	ds_store_2addr_b32 v5, v7, v8 offset0:76 offset1:178
	s_wait_loadcnt 0x9
	ds_store_2addr_b32 v19, v9, v10 offset0:152 offset1:254
	s_wait_loadcnt 0x7
	ds_store_2addr_b32 v20, v11, v12 offset0:100 offset1:202
	s_wait_loadcnt 0x5
	ds_store_2addr_b32 v21, v13, v14 offset0:48 offset1:150
	s_wait_loadcnt 0x3
	ds_store_2addr_b32 v22, v15, v16 offset0:124 offset1:226
	s_wait_loadcnt 0x1
	ds_store_2addr_b32 v23, v17, v18 offset0:72 offset1:174
	s_wait_loadcnt 0x0
	ds_store_b32 v25, v4 offset:5712
.LBB0_11:
	s_wait_alu 0xfffe
	s_or_b32 exec_lo, exec_lo, s1
	global_wb scope:SCOPE_SE
	s_wait_dscnt 0x0
	s_barrier_signal -1
	s_barrier_wait -1
	global_inv scope:SCOPE_SE
	ds_load_2addr_b32 v[5:6], v25 offset1:90
	v_add_nc_u32_e32 v27, 0x1200, v25
	ds_load_b32 v36, v25 offset:5760
	v_add_nc_u32_e32 v22, 0x200, v25
	v_add_nc_u32_e32 v1, 0x1000, v25
	;; [unrolled: 1-line block ×3, first 2 shown]
	ds_load_2addr_b32 v[8:9], v27 offset0:108 offset1:198
	ds_load_2addr_b32 v[20:21], v22 offset0:52 offset1:142
	;; [unrolled: 1-line block ×4, first 2 shown]
	v_add_nc_u32_e32 v24, 0x800, v25
	v_add_nc_u32_e32 v28, 0xa00, v25
	;; [unrolled: 1-line block ×3, first 2 shown]
	ds_load_2addr_b32 v[16:17], v24 offset0:28 offset1:118
	ds_load_2addr_b32 v[14:15], v28 offset0:80 offset1:170
	ds_load_2addr_b32 v[12:13], v29 offset0:132 offset1:222
	s_mov_b32 s1, exec_lo
	global_wb scope:SCOPE_SE
	s_wait_dscnt 0x0
	s_barrier_signal -1
	s_barrier_wait -1
	global_inv scope:SCOPE_SE
	v_lshrrev_b32_e32 v47, 16, v5
	v_pk_add_f16 v30, v6, v36 neg_lo:[0,1] neg_hi:[0,1]
	v_pk_add_f16 v44, v36, v6
	v_pk_add_f16 v34, v20, v9 neg_lo:[0,1] neg_hi:[0,1]
	s_delay_alu instid0(VALU_DEP_3)
	v_pk_mul_f16 v1, 0xb5c8, v30 op_sel_hi:[0,1]
	v_pk_add_f16 v33, v21, v8 neg_lo:[0,1] neg_hi:[0,1]
	v_pk_add_f16 v43, v9, v20
	v_pk_add_f16 v41, v8, v21
	v_pk_mul_f16 v4, 0xb964, v34 op_sel_hi:[0,1]
	v_pk_fma_f16 v54, 0x3b76, v44, v1 op_sel:[0,0,1] op_sel_hi:[0,1,0]
	v_pk_mul_f16 v7, 0xbb29, v33 op_sel_hi:[0,1]
	v_pk_add_f16 v31, v18, v11 neg_lo:[0,1] neg_hi:[0,1]
	v_pk_add_f16 v32, v19, v10 neg_lo:[0,1] neg_hi:[0,1]
	v_pk_fma_f16 v49, 0x39e9, v43, v4 op_sel:[0,0,1] op_sel_hi:[0,1,0]
	v_pk_add_f16 v40, v11, v18
	v_pk_fma_f16 v51, 0x3722, v41, v7 op_sel:[0,0,1] op_sel_hi:[0,1,0] neg_lo:[0,0,1] neg_hi:[0,0,1]
	v_pk_fma_f16 v52, 0x3722, v41, v7 op_sel:[0,0,1] op_sel_hi:[0,1,0]
	v_lshrrev_b32_e32 v7, 16, v54
	v_pk_fma_f16 v53, 0x3b76, v44, v1 op_sel:[0,0,1] op_sel_hi:[0,1,0] neg_lo:[0,0,1] neg_hi:[0,0,1]
	v_pk_fma_f16 v48, 0x39e9, v43, v4 op_sel:[0,0,1] op_sel_hi:[0,1,0] neg_lo:[0,0,1] neg_hi:[0,0,1]
	v_pk_mul_f16 v1, 0xbbf7, v31 op_sel_hi:[0,1]
	v_pk_add_f16 v35, v10, v19
	v_pk_mul_f16 v4, 0xbbb2, v32 op_sel_hi:[0,1]
	v_pk_add_f16 v37, v16, v13 neg_lo:[0,1] neg_hi:[0,1]
	v_add_f16_e32 v7, v47, v7
	v_lshrrev_b32_e32 v26, 16, v49
	v_pk_fma_f16 v55, 0x2de8, v40, v1 op_sel:[0,0,1] op_sel_hi:[0,1,0]
	v_pk_fma_f16 v56, 0xb461, v35, v4 op_sel:[0,0,1] op_sel_hi:[0,1,0] neg_lo:[0,0,1] neg_hi:[0,0,1]
	v_pk_add_f16 v42, v13, v16
	v_pk_mul_f16 v38, 0xba62, v37 op_sel_hi:[0,1]
	v_pk_fma_f16 v58, 0xb461, v35, v4 op_sel:[0,0,1] op_sel_hi:[0,1,0]
	v_add_f16_e32 v4, v26, v7
	v_lshrrev_b32_e32 v7, 16, v52
	v_pk_add_f16 v45, v12, v17
	v_pk_fma_f16 v57, 0xb8d2, v42, v38 op_sel:[0,0,1] op_sel_hi:[0,1,0] neg_lo:[0,0,1] neg_hi:[0,0,1]
	v_pk_fma_f16 v59, 0xb8d2, v42, v38 op_sel:[0,0,1] op_sel_hi:[0,1,0]
	v_pk_add_f16 v38, v17, v12 neg_lo:[0,1] neg_hi:[0,1]
	v_add_f16_e32 v4, v7, v4
	v_lshrrev_b32_e32 v7, 16, v55
	v_pk_mul_f16 v67, 0xbbf7, v34 op_sel_hi:[0,1]
	v_pk_fma_f16 v50, 0x2de8, v40, v1 op_sel:[0,0,1] op_sel_hi:[0,1,0] neg_lo:[0,0,1] neg_hi:[0,0,1]
	v_pk_mul_f16 v26, 0xb836, v38 op_sel_hi:[0,1]
	v_add_f16_e32 v1, v5, v53
	v_add_f16_e32 v4, v7, v4
	v_lshrrev_b32_e32 v7, 16, v58
	v_pk_fma_f16 v66, 0x2de8, v43, v67 op_sel:[0,0,1] op_sel_hi:[0,1,0]
	v_pk_fma_f16 v60, 0xbacd, v45, v26 op_sel:[0,0,1] op_sel_hi:[0,1,0] neg_lo:[0,0,1] neg_hi:[0,0,1]
	v_pk_fma_f16 v61, 0xbacd, v45, v26 op_sel:[0,0,1] op_sel_hi:[0,1,0]
	v_pk_mul_f16 v26, 0xb964, v30 op_sel_hi:[0,1]
	v_add_f16_e32 v4, v7, v4
	v_lshrrev_b32_e32 v7, 16, v59
	v_pk_fma_f16 v67, 0x2de8, v43, v67 op_sel:[0,0,1] op_sel_hi:[0,1,0] neg_lo:[0,0,1] neg_hi:[0,0,1]
	v_lshrrev_b32_e32 v71, 16, v66
	v_pk_fma_f16 v64, 0x39e9, v44, v26 op_sel:[0,0,1] op_sel_hi:[0,1,0]
	v_pk_fma_f16 v65, 0x39e9, v44, v26 op_sel:[0,0,1] op_sel_hi:[0,1,0] neg_lo:[0,0,1] neg_hi:[0,0,1]
	v_add_f16_e32 v4, v7, v4
	v_lshrrev_b32_e32 v7, 16, v61
	v_pk_mul_f16 v26, 0xba62, v33 op_sel_hi:[0,1]
	v_pk_mul_f16 v72, 0xb1e1, v31 op_sel_hi:[0,1]
	v_add_f16_e32 v70, v5, v65
	v_add_f16_e32 v1, v48, v1
	;; [unrolled: 1-line block ×3, first 2 shown]
	v_lshrrev_b32_e32 v4, 16, v64
	v_pk_fma_f16 v68, 0xb8d2, v41, v26 op_sel:[0,0,1] op_sel_hi:[0,1,0]
	v_pk_fma_f16 v69, 0xb8d2, v41, v26 op_sel:[0,0,1] op_sel_hi:[0,1,0] neg_lo:[0,0,1] neg_hi:[0,0,1]
	v_add_f16_e32 v26, v67, v70
	v_pk_fma_f16 v70, 0xbbdd, v40, v72 op_sel:[0,0,1] op_sel_hi:[0,1,0]
	v_add_f16_e32 v4, v47, v4
	v_lshrrev_b32_e32 v73, 16, v68
	v_pk_mul_f16 v74, 0x3836, v32 op_sel_hi:[0,1]
	v_add_f16_e32 v1, v51, v1
	v_add_f16_e32 v26, v69, v26
	;; [unrolled: 1-line block ×3, first 2 shown]
	v_pk_fma_f16 v71, 0xbbdd, v40, v72 op_sel:[0,0,1] op_sel_hi:[0,1,0] neg_lo:[0,0,1] neg_hi:[0,0,1]
	v_lshrrev_b32_e32 v75, 16, v70
	v_pk_fma_f16 v72, 0xbacd, v35, v74 op_sel:[0,0,1] op_sel_hi:[0,1,0]
	v_pk_mul_f16 v76, 0x3bb2, v37 op_sel_hi:[0,1]
	v_add_f16_e32 v4, v73, v4
	v_pk_add_f16 v39, v14, v15 neg_lo:[0,1] neg_hi:[0,1]
	v_add_f16_e32 v1, v50, v1
	v_pk_fma_f16 v73, 0xbacd, v35, v74 op_sel:[0,0,1] op_sel_hi:[0,1,0] neg_lo:[0,0,1] neg_hi:[0,0,1]
	v_add_f16_e32 v26, v71, v26
	v_add_f16_e32 v4, v75, v4
	v_lshrrev_b32_e32 v77, 16, v72
	v_pk_fma_f16 v74, 0xb461, v42, v76 op_sel:[0,0,1] op_sel_hi:[0,1,0]
	v_pk_mul_f16 v78, 0x3b29, v38 op_sel_hi:[0,1]
	v_pk_add_f16 v46, v15, v14
	v_add_f16_e32 v1, v56, v1
	v_pk_mul_f16 v63, 0xb1e1, v39 op_sel_hi:[0,1]
	v_pk_fma_f16 v75, 0xb461, v42, v76 op_sel:[0,0,1] op_sel_hi:[0,1,0] neg_lo:[0,0,1] neg_hi:[0,0,1]
	v_add_f16_e32 v26, v73, v26
	v_add_f16_e32 v4, v77, v4
	v_lshrrev_b32_e32 v79, 16, v74
	v_pk_fma_f16 v76, 0x3722, v45, v78 op_sel:[0,0,1] op_sel_hi:[0,1,0]
	v_pk_mul_f16 v80, 0x35c8, v39 op_sel_hi:[0,1]
	v_add_f16_e32 v1, v57, v1
	v_pk_fma_f16 v62, 0xbbdd, v46, v63 op_sel:[0,0,1] op_sel_hi:[0,1,0] neg_lo:[0,0,1] neg_hi:[0,0,1]
	v_pk_fma_f16 v63, 0xbbdd, v46, v63 op_sel:[0,0,1] op_sel_hi:[0,1,0]
	v_pk_fma_f16 v77, 0x3722, v45, v78 op_sel:[0,0,1] op_sel_hi:[0,1,0] neg_lo:[0,0,1] neg_hi:[0,0,1]
	v_add_f16_e32 v26, v75, v26
	v_add_f16_e32 v4, v79, v4
	v_lshrrev_b32_e32 v81, 16, v76
	v_pk_fma_f16 v78, 0x3b76, v46, v80 op_sel:[0,0,1] op_sel_hi:[0,1,0]
	v_add_f16_e32 v1, v60, v1
	v_lshrrev_b32_e32 v82, 16, v63
	v_pk_fma_f16 v79, 0x3b76, v46, v80 op_sel:[0,0,1] op_sel_hi:[0,1,0] neg_lo:[0,0,1] neg_hi:[0,0,1]
	v_add_f16_e32 v80, v77, v26
	v_add_f16_e32 v81, v81, v4
	v_lshrrev_b32_e32 v83, 16, v78
	v_add_f16_e32 v4, v62, v1
	v_add_f16_e32 v26, v82, v7
	v_add_f16_e32 v7, v79, v80
	s_delay_alu instid0(VALU_DEP_4)
	v_add_f16_e32 v1, v83, v81
	v_cmpx_gt_u32_e32 0x5a, v0
	s_cbranch_execz .LBB0_13
; %bb.12:
	v_lshrrev_b32_e32 v85, 16, v44
	v_lshrrev_b32_e32 v84, 16, v43
	;; [unrolled: 1-line block ×5, first 2 shown]
	v_mul_f16_e32 v80, 0xbacd, v85
	v_mul_f16_e32 v90, 0x3722, v84
	v_mul_f16_e32 v93, 0x2de8, v83
	v_lshrrev_b32_e32 v86, 16, v30
	v_pk_add_f16 v6, v5, v6
	v_fmamk_f16 v87, v30, 0x3836, v80
	v_fmamk_f16 v88, v34, 0xbb29, v90
	v_mul_f16_e32 v96, 0xb8d2, v82
	v_fmamk_f16 v97, v33, 0x3bf7, v93
	v_lshrrev_b32_e32 v89, 16, v34
	v_add_f16_e32 v87, v47, v87
	v_lshrrev_b32_e32 v92, 16, v42
	v_pk_add_f16 v6, v6, v20
	v_mul_f16_e32 v98, 0xb836, v86
	v_mul_f16_e32 v99, 0x3b76, v81
	v_add_f16_e32 v87, v88, v87
	v_fmamk_f16 v20, v31, 0xba62, v96
	v_lshrrev_b32_e32 v91, 16, v33
	v_lshrrev_b32_e32 v94, 16, v45
	v_mul_f16_e32 v100, 0xbbdd, v92
	v_add_f16_e32 v87, v97, v87
	v_mul_f16_e32 v97, 0x3b29, v89
	v_pk_add_f16 v6, v6, v21
	v_fmamk_f16 v21, v32, 0x35c8, v99
	v_lshrrev_b32_e32 v95, 16, v46
	v_add_f16_e32 v20, v20, v87
	v_fmamk_f16 v87, v44, 0xbacd, v98
	v_mul_f16_e32 v101, 0xbbf7, v91
	v_fmamk_f16 v88, v37, 0x31e1, v100
	v_pk_add_f16 v6, v6, v18
	v_add_f16_e32 v18, v21, v20
	v_mul_f16_e32 v102, 0x39e9, v94
	v_fmamk_f16 v20, v43, 0x3722, v97
	v_add_f16_e32 v21, v5, v87
	v_lshrrev_b32_e32 v103, 16, v31
	v_pk_add_f16 v19, v6, v19
	v_add_f16_e32 v6, v88, v18
	v_fmamk_f16 v18, v38, 0xb964, v102
	v_mul_f16_e32 v104, 0xb461, v95
	v_add_f16_e32 v20, v20, v21
	v_fmamk_f16 v21, v41, 0x2de8, v101
	v_mul_f16_e32 v105, 0x3a62, v103
	v_add_f16_e32 v6, v18, v6
	v_fmamk_f16 v18, v39, 0x3bb2, v104
	v_lshrrev_b32_e32 v106, 16, v32
	v_add_f16_e32 v20, v21, v20
	v_fmamk_f16 v21, v40, 0xb8d2, v105
	v_mul_f16_e32 v107, 0xb8d2, v85
	v_add_f16_e32 v6, v18, v6
	v_mul_f16_e32 v108, 0xb5c8, v106
	v_lshrrev_b32_e32 v109, 16, v37
	v_add_f16_e32 v18, v21, v20
	v_fmamk_f16 v20, v30, 0x3a62, v107
	v_mul_f16_e32 v110, 0xb461, v84
	v_fmamk_f16 v21, v35, 0x3b76, v108
	v_mul_f16_e32 v111, 0xb1e1, v109
	v_lshrrev_b32_e32 v112, 16, v38
	v_add_f16_e32 v20, v47, v20
	v_fmamk_f16 v87, v34, 0xbbb2, v110
	v_mul_f16_e32 v113, 0x3b76, v83
	v_add_f16_e32 v18, v21, v18
	v_fmamk_f16 v21, v42, 0xbbdd, v111
	v_mul_f16_e32 v114, 0x3964, v112
	;; [unrolled: 3-line block ×3, first 2 shown]
	v_add_f16_e32 v18, v21, v18
	v_fmamk_f16 v21, v45, 0x39e9, v114
	v_lshrrev_b32_e32 v116, 16, v39
	v_add_f16_e32 v20, v87, v20
	v_fmamk_f16 v87, v31, 0x3836, v115
	v_mul_f16_e32 v117, 0x2de8, v81
	v_mul_f16_e32 v119, 0xba62, v86
	v_add_f16_e32 v18, v21, v18
	v_mul_f16_e32 v118, 0xbbb2, v116
	v_add_f16_e32 v20, v87, v20
	v_fmamk_f16 v21, v32, 0xbbf7, v117
	v_mul_f16_e32 v120, 0x39e9, v92
	v_fmamk_f16 v88, v44, 0xb8d2, v119
	v_mul_f16_e32 v121, 0x3bb2, v89
	v_fmamk_f16 v87, v46, 0xb461, v118
	v_add_f16_e32 v20, v21, v20
	v_fmamk_f16 v21, v37, 0x3964, v120
	v_mul_f16_e32 v122, 0xbbdd, v94
	v_add_f16_e32 v88, v5, v88
	v_fmamk_f16 v123, v43, 0xb461, v121
	v_mul_f16_e32 v124, 0xb5c8, v91
	v_add_f16_e32 v20, v21, v20
	v_fmamk_f16 v21, v38, 0x31e1, v122
	v_add_f16_e32 v18, v87, v18
	v_add_f16_e32 v87, v123, v88
	v_fmamk_f16 v88, v41, 0x3b76, v124
	v_mul_f16_e32 v123, 0xb836, v103
	v_add_f16_e32 v20, v21, v20
	v_mul_f16_e32 v126, 0xb461, v85
	v_mul_f16_e32 v127, 0x3bf7, v106
	v_add_f16_e32 v21, v88, v87
	v_fmamk_f16 v87, v40, 0xbacd, v123
	v_mul_f16_e64 v129, 0xbacd, v84
	v_fma_f16 v128, 0x3bb2, v30, v126
	v_mul_f16_e64 v130, 0xb964, v109
	v_bfi_b32 v53, 0xffff, v54, v53
	v_add_f16_e32 v21, v87, v21
	v_fmamk_f16 v87, v35, 0x2de8, v127
	v_fma_f16 v54, v44, 0xbacd, -v98
	v_add_f16_e64 v128, v47, v128
	v_fma_f16 v131, 0xb836, v34, v129
	v_mul_f16_e64 v132, 0x39e9, v83
	v_add_f16_e32 v21, v87, v21
	v_fma_f16 v87, 0x39e9, v42, v130
	v_mul_f16_e64 v134, 0xbbb2, v86
	v_bfi_b32 v48, 0xffff, v49, v48
	v_bfi_b32 v49, 0xffff, v52, v51
	v_add_f16_e32 v52, v5, v54
	v_fma_f16 v54, v43, 0x3722, -v97
	v_mul_f16_e32 v125, 0x3722, v95
	v_add_f16_e64 v128, v131, v128
	v_fma_f16 v131, 0xb964, v33, v132
	v_add_f16_e32 v21, v87, v21
	v_fma_f16 v87, 0xb461, v44, v134
	v_mul_f16_e64 v136, 0x3836, v89
	v_add_f16_e32 v52, v54, v52
	v_fma_f16 v54, v41, 0x2de8, -v101
	v_fmamk_f16 v88, v39, 0xbb29, v125
	v_mul_f16_e64 v133, 0xb1e1, v112
	v_mul_f16_e64 v135, 0x3722, v82
	v_add_f16_e64 v128, v131, v128
	v_add_f16_e32 v87, v5, v87
	v_fma_f16 v131, 0xbacd, v43, v136
	v_mul_f16_e64 v139, 0x3964, v91
	v_add_f16_e32 v52, v54, v52
	v_fma_f16 v54, v40, 0xb8d2, -v105
	v_fmac_f16_e32 v107, 0xba62, v30
	v_fma_f16 v137, 0xbbdd, v45, v133
	v_mul_f16_e64 v138, 0x3b29, v116
	v_fma_f16 v140, 0x3b29, v31, v135
	v_mul_f16_e64 v141, 0xbbdd, v81
	v_add_f16_e32 v20, v88, v20
	v_add_f16_e64 v87, v131, v87
	v_fma_f16 v88, 0x39e9, v41, v139
	v_mul_f16_e64 v131, 0xbb29, v103
	v_bfi_b32 v50, 0xffff, v55, v50
	v_bfi_b32 v55, 0xffff, v58, v56
	;; [unrolled: 1-line block ×4, first 2 shown]
	v_add_f16_e32 v52, v54, v52
	v_fma_f16 v54, v35, 0x3b76, -v108
	v_add_f16_e32 v59, v47, v107
	v_fmac_f16_e32 v110, 0x3bb2, v34
	v_fma_f16 v60, v44, 0xb8d2, -v119
	v_add_f16_e64 v21, v137, v21
	v_fma_f16 v137, 0x3722, v46, v138
	v_add_f16_e64 v128, v140, v128
	v_add_f16_e32 v87, v88, v87
	v_fma_f16 v88, 0x3722, v40, v131
	v_mul_f16_e64 v140, 0xb1e1, v106
	v_fma_f16 v142, 0x31e1, v32, v141
	v_mul_f16_e64 v143, 0x2de8, v92
	v_add_f16_e32 v52, v54, v52
	v_fma_f16 v54, v42, 0xbbdd, -v111
	v_add_f16_e32 v59, v110, v59
	v_fmac_f16_e32 v113, 0xb5c8, v33
	v_add_f16_e32 v60, v5, v60
	v_fma_f16 v61, v43, 0xb461, -v121
	v_add_f16_e64 v21, v137, v21
	v_add_f16_e32 v87, v88, v87
	v_fma_f16 v88, 0xbbdd, v35, v140
	v_mul_f16_e64 v137, 0x3bf7, v109
	v_add_f16_e64 v128, v142, v128
	v_fma_f16 v142, 0xbbf7, v37, v143
	v_mul_f16_e64 v144, 0x3b76, v94
	v_add_f16_e32 v52, v54, v52
	v_fma_f16 v54, v45, 0x39e9, -v114
	v_add_f16_e32 v59, v113, v59
	v_fmac_f16_e32 v115, 0xb836, v31
	v_add_f16_e32 v60, v61, v60
	v_fma_f16 v61, v41, 0x3b76, -v124
	v_add_f16_e32 v87, v88, v87
	v_fma_f16 v88, 0x2de8, v42, v137
	v_mul_f16_e64 v145, 0xb5c8, v112
	v_add_f16_e64 v128, v142, v128
	v_fma_f16 v142, 0x35c8, v38, v144
	v_mul_f16_e64 v146, 0xb8d2, v95
	v_add_f16_e32 v52, v54, v52
	v_fma_f16 v54, v46, 0xb461, -v118
	v_add_f16_e32 v59, v115, v59
	v_fmac_f16_e32 v117, 0x3bf7, v32
	v_add_f16_e32 v60, v61, v60
	v_fma_f16 v61, v40, 0xbacd, -v123
	v_fmac_f16_e32 v126, 0xbbb2, v30
	v_add_f16_e32 v87, v88, v87
	v_fma_f16 v88, 0x3b76, v45, v145
	v_mul_f16_e64 v147, 0xba62, v116
	v_add_f16_e64 v128, v142, v128
	v_fma_f16 v142, 0x3a62, v39, v146
	v_mul_f16_e64 v148, 0x2de8, v85
	v_add_f16_e32 v52, v54, v52
	v_add_f16_e32 v54, v117, v59
	;; [unrolled: 1-line block ×3, first 2 shown]
	v_fma_f16 v60, v35, 0x2de8, -v127
	v_add_f16_e32 v61, v47, v126
	v_fmac_f16_e64 v129, 0x3836, v34
	v_add_f16_e32 v88, v88, v87
	v_fma_f16 v149, 0xb8d2, v46, v147
	v_mul_f16_e64 v150, 0xbbf7, v86
	v_add_f16_e64 v87, v142, v128
	v_fma_f16 v128, 0x3bf7, v30, v148
	v_mul_f16_e64 v142, 0xbbdd, v84
	v_add_f16_e32 v59, v60, v59
	v_fma_f16 v60, v42, 0x39e9, -v130
	v_add_f16_e64 v61, v129, v61
	v_fmac_f16_e64 v132, 0x3964, v33
	v_add_f16_e64 v88, v149, v88
	v_fma_f16 v149, 0x2de8, v44, v150
	v_mul_f16_e64 v151, 0xb1e1, v89
	v_add_f16_e64 v128, v47, v128
	v_fma_f16 v152, 0x31e1, v34, v142
	v_mul_f16_e64 v153, 0xb461, v83
	v_fmac_f16_e32 v80, 0xb836, v30
	v_bfi_b32 v58, 0xffff, v63, v62
	v_add_f16_e32 v59, v60, v59
	v_fma_f16 v60, v45, 0xbbdd, -v133
	v_add_f16_e64 v61, v132, v61
	v_fmac_f16_e64 v135, 0xbb29, v31
	v_fma_f16 v62, v44, 0xb461, -v134
	v_add_f16_e64 v149, v5, v149
	v_fma_f16 v154, 0xbbdd, v43, v151
	v_mul_f16_e64 v155, 0x3bb2, v91
	v_add_f16_e64 v128, v152, v128
	v_fma_f16 v152, 0xbbb2, v33, v153
	v_mul_f16_e64 v156, 0x3b76, v82
	v_add_f16_e32 v80, v47, v80
	v_fmac_f16_e32 v90, 0x3b29, v34
	v_add_f16_e32 v59, v60, v59
	v_fma_f16 v60, v46, 0x3722, -v138
	v_add_f16_e64 v61, v135, v61
	v_fmac_f16_e64 v141, 0xb1e1, v32
	v_add_f16_e32 v62, v5, v62
	v_fma_f16 v63, v43, 0xbacd, -v136
	v_fmac_f16_e64 v148, 0xbbf7, v30
	v_add_f16_e64 v149, v154, v149
	v_fma_f16 v154, 0xb461, v41, v155
	v_mul_f16_e64 v157, 0x35c8, v103
	v_add_f16_e64 v128, v152, v128
	v_fma_f16 v152, 0xb5c8, v31, v156
	v_mul_f16_e64 v158, 0x3722, v81
	v_bfi_b32 v64, 0xffff, v64, v65
	v_bfi_b32 v65, 0xffff, v66, v67
	;; [unrolled: 1-line block ×3, first 2 shown]
	v_add_f16_e32 v68, v90, v80
	v_fmac_f16_e32 v93, 0xbbf7, v33
	v_add_f16_e32 v59, v60, v59
	v_add_f16_e64 v60, v141, v61
	v_add_f16_e32 v61, v63, v62
	v_fma_f16 v62, v41, 0x39e9, -v139
	v_add_f16_e64 v63, v47, v148
	v_fmac_f16_e64 v142, 0xb1e1, v34
	v_add_f16_e64 v149, v154, v149
	v_fma_f16 v154, 0x3b76, v40, v157
	v_mul_f16_e64 v159, 0xbb29, v106
	v_add_f16_e64 v128, v152, v128
	v_fma_f16 v152, 0x3b29, v32, v158
	v_mul_f16_e64 v160, 0xbacd, v92
	v_add_f16_e32 v68, v93, v68
	v_fmac_f16_e32 v96, 0x3a62, v31
	v_add_f16_e32 v61, v62, v61
	v_fma_f16 v62, v40, 0x3722, -v131
	v_add_f16_e64 v63, v142, v63
	v_fmac_f16_e64 v153, 0x3bb2, v33
	v_add_f16_e64 v149, v154, v149
	v_fma_f16 v154, 0x3722, v35, v159
	v_mul_f16_e64 v161, 0xb836, v109
	v_add_f16_e64 v128, v152, v128
	v_fma_f16 v152, 0x3836, v37, v160
	v_mul_f16_e64 v162, 0xb8d2, v94
	v_add_f16_e32 v51, v96, v68
	v_add_f16_e32 v61, v62, v61
	v_fma_f16 v62, v35, 0xbbdd, -v140
	v_add_f16_e64 v63, v153, v63
	v_fmac_f16_e64 v156, 0x35c8, v31
	v_fma_f16 v68, v44, 0x2de8, -v150
	v_add_f16_e64 v149, v154, v149
	v_fma_f16 v154, 0xbacd, v42, v161
	v_mul_f16_e64 v163, 0x3a62, v112
	v_add_f16_e64 v128, v152, v128
	v_fma_f16 v152, 0xba62, v38, v162
	v_mul_f16_e64 v164, 0x39e9, v95
	v_bfi_b32 v69, 0xffff, v72, v73
	v_add_f16_e32 v61, v62, v61
	v_fma_f16 v62, v42, 0x2de8, -v137
	v_add_f16_e64 v63, v156, v63
	v_fmac_f16_e64 v158, 0xbb29, v32
	v_add_f16_e32 v68, v5, v68
	v_fma_f16 v73, v43, 0xbbdd, -v151
	v_add_f16_e64 v149, v154, v149
	v_fma_f16 v154, 0xb8d2, v45, v163
	v_mul_f16_e64 v165, 0x3964, v116
	v_add_f16_e64 v128, v152, v128
	v_fma_f16 v152, 0xb964, v39, v164
	v_mul_f16_e64 v166, 0x3722, v85
	v_add_f16_e32 v61, v62, v61
	v_fma_f16 v62, v45, 0x3b76, -v145
	v_add_f16_e64 v63, v158, v63
	v_fmac_f16_e64 v160, 0xb836, v37
	v_add_f16_e32 v68, v73, v68
	v_fma_f16 v73, v41, 0xb461, -v155
	v_add_f16_e64 v149, v154, v149
	v_fma_f16 v154, 0x39e9, v46, v165
	v_mul_f16_e32 v86, 0xbb29, v86
	v_add_f16_e64 v85, v152, v128
	v_fma_f16 v128, 0x3b29, v30, v166
	v_mul_f16_e64 v152, 0xb8d2, v84
	v_add_f16_e32 v61, v62, v61
	v_fma_f16 v62, v46, 0xb8d2, -v147
	v_add_f16_e64 v63, v160, v63
	v_fmac_f16_e64 v162, 0x3a62, v38
	v_add_f16_e32 v68, v73, v68
	v_fma_f16 v73, v40, 0x3b76, -v157
	v_fmac_f16_e64 v166, 0xbb29, v30
	v_add_f16_e64 v84, v154, v149
	v_mul_f16_e32 v89, 0xba62, v89
	v_add_f16_e64 v128, v47, v128
	v_fma_f16 v154, 0x3a62, v34, v152
	v_mul_f16_e32 v83, 0xbbdd, v83
	v_add_f16_e32 v61, v62, v61
	v_add_f16_e64 v62, v162, v63
	v_add_f16_e32 v63, v73, v68
	v_fma_f16 v68, v35, 0x3722, -v159
	v_add_f16_e64 v47, v47, v166
	v_fmac_f16_e64 v152, 0xba62, v34
	v_fma_f16 v73, v44, 0x3722, -v86
	v_pk_add_f16 v16, v19, v16
	v_mul_f16_e32 v91, 0x31e1, v91
	v_add_f16_e64 v128, v154, v128
	v_fma_f16 v154, 0xb1e1, v33, v83
	v_mul_f16_e32 v82, 0xb461, v82
	v_bfi_b32 v67, 0xffff, v70, v71
	v_bfi_b32 v70, 0xffff, v74, v75
	v_add_f16_e32 v63, v68, v63
	v_fma_f16 v68, v42, 0xbacd, -v161
	v_add_f16_e64 v47, v152, v47
	v_fmac_f16_e32 v83, 0x31e1, v33
	v_add_f16_e32 v73, v5, v73
	v_fma_f16 v74, v43, 0xb8d2, -v89
	v_pk_add_f16 v16, v16, v17
	v_mul_f16_e32 v103, 0x3bb2, v103
	v_add_f16_e64 v128, v154, v128
	v_fma_f16 v154, 0xbbb2, v31, v82
	v_mul_f16_e32 v81, 0x39e9, v81
	v_add_f16_e32 v63, v68, v63
	v_fma_f16 v68, v45, 0xb8d2, -v163
	v_add_f16_e32 v47, v83, v47
	v_fmac_f16_e32 v82, 0x3bb2, v31
	v_add_f16_e32 v73, v74, v73
	v_fma_f16 v74, v41, 0xbbdd, -v91
	v_pk_add_f16 v14, v16, v14
	v_mul_f16_e32 v106, 0x3964, v106
	v_add_f16_e64 v128, v154, v128
	v_fma_f16 v154, 0xb964, v32, v81
	v_mul_f16_e32 v92, 0x3b76, v92
	v_add_f16_e32 v63, v68, v63
	v_add_f16_e32 v19, v82, v47
	v_fmac_f16_e32 v81, 0x3964, v32
	v_add_f16_e32 v47, v74, v73
	v_fma_f16 v68, v40, 0xb461, -v103
	v_pk_add_f16 v14, v14, v15
	v_mul_f16_e32 v109, 0xb5c8, v109
	v_add_f16_e64 v128, v154, v128
	v_fma_f16 v154, 0x35c8, v37, v92
	v_mul_f16_e32 v94, 0x2de8, v94
	v_add_f16_e32 v19, v81, v19
	v_fmac_f16_e32 v92, 0xb5c8, v37
	v_add_f16_e32 v47, v68, v47
	v_fma_f16 v16, v35, 0x39e9, -v106
	v_pk_add_f16 v12, v14, v12
	v_add_f16_e64 v128, v154, v128
	v_fma_f16 v154, 0x3bf7, v38, v94
	v_add_f16_e32 v19, v92, v19
	v_fmac_f16_e32 v94, 0xbbf7, v38
	v_add_f16_e32 v15, v16, v47
	v_fma_f16 v16, v42, 0x3b76, -v109
	v_pk_add_f16 v47, v5, v53
	v_pk_add_f16 v53, v5, v64
	;; [unrolled: 1-line block ×3, first 2 shown]
	v_mul_f16_e32 v112, 0xbbf7, v112
	v_add_f16_e32 v14, v94, v19
	v_add_f16_e32 v15, v16, v15
	v_pk_add_f16 v16, v48, v47
	v_pk_add_f16 v19, v65, v53
	;; [unrolled: 1-line block ×3, first 2 shown]
	v_mul_f16_e32 v95, 0xbacd, v95
	v_fma_f16 v13, v45, 0x2de8, -v112
	v_pk_add_f16 v16, v49, v16
	v_pk_add_f16 v19, v66, v19
	;; [unrolled: 1-line block ×3, first 2 shown]
	v_add_f16_e64 v128, v154, v128
	v_fma_f16 v154, 0x3836, v39, v95
	v_fmac_f16_e32 v95, 0xb836, v39
	v_add_f16_e32 v12, v13, v15
	v_pk_add_f16 v15, v50, v16
	v_pk_add_f16 v16, v67, v19
	;; [unrolled: 1-line block ×3, first 2 shown]
	v_pk_mul_f16 v10, 0xbbdd, v44 op_sel_hi:[0,1]
	v_fma_f16 v149, 0x3722, v44, v86
	v_add_f16_e32 v11, v95, v14
	v_pk_add_f16 v14, v69, v16
	v_pk_add_f16 v8, v8, v9
	v_pk_fma_f16 v9, 0xb1e1, v30, v10 op_sel:[0,0,1] op_sel_hi:[0,1,0]
	v_pk_mul_f16 v16, 0x3b76, v43 op_sel_hi:[0,1]
	v_add_f16_e64 v149, v5, v149
	v_fma_f16 v167, 0xb8d2, v43, v89
	v_pk_add_f16 v8, v8, v36
	v_alignbit_b32 v19, s0, v9, 16
	v_pk_fma_f16 v36, 0x35c8, v34, v16 op_sel:[0,0,1] op_sel_hi:[0,1,0]
	v_pk_fma_f16 v10, 0xb1e1, v30, v10 op_sel:[0,0,1] op_sel_hi:[0,1,0] neg_lo:[0,1,0] neg_hi:[0,1,0]
	v_add_f16_e64 v149, v167, v149
	v_fma_f16 v167, 0xbbdd, v41, v91
	v_pk_mul_f16 v41, 0xbacd, v41 op_sel_hi:[0,1]
	v_pk_add_f16 v19, v5, v19
	v_alignbit_b32 v43, s0, v36, 16
	v_mul_f16_e32 v116, 0xb836, v116
	v_add_f16_e64 v149, v167, v149
	v_fma_f16 v167, 0xb461, v40, v103
	v_pk_fma_f16 v48, 0xb836, v33, v41 op_sel:[0,0,1] op_sel_hi:[0,1,0]
	v_pk_mul_f16 v40, 0x39e9, v40 op_sel_hi:[0,1]
	v_pk_add_f16 v19, v43, v19
	v_alignbit_b32 v43, s0, v5, 16
	v_add_f16_e64 v149, v167, v149
	v_fma_f16 v167, 0x39e9, v35, v106
	v_alignbit_b32 v30, s0, v48, 16
	v_pk_fma_f16 v49, 0x3964, v31, v40 op_sel:[0,0,1] op_sel_hi:[0,1,0]
	v_pk_mul_f16 v35, 0xb8d2, v35 op_sel_hi:[0,1]
	v_pk_add_f16 v9, v43, v9
	v_pk_add_f16 v5, v5, v10 op_sel:[1,0] op_sel_hi:[0,1]
	v_pk_fma_f16 v10, 0x35c8, v34, v16 op_sel:[0,0,1] op_sel_hi:[0,1,0] neg_lo:[0,1,0] neg_hi:[0,1,0]
	v_pk_add_f16 v16, v30, v19
	v_alignbit_b32 v19, s0, v49, 16
	v_pk_fma_f16 v30, 0xba62, v32, v35 op_sel:[0,0,1] op_sel_hi:[0,1,0]
	v_pk_add_f16 v9, v36, v9
	v_pk_add_f16 v5, v10, v5
	v_pk_fma_f16 v10, 0xb836, v33, v41 op_sel:[0,0,1] op_sel_hi:[0,1,0] neg_lo:[0,1,0] neg_hi:[0,1,0]
	v_pk_add_f16 v16, v19, v16
	v_alignbit_b32 v19, s0, v30, 16
	v_pk_mul_f16 v33, 0x3722, v42 op_sel_hi:[0,1]
	v_pk_add_f16 v9, v48, v9
	v_pk_add_f16 v5, v10, v5
	v_pk_fma_f16 v10, 0x3964, v31, v40 op_sel:[0,0,1] op_sel_hi:[0,1,0] neg_lo:[0,1,0] neg_hi:[0,1,0]
	v_fma_f16 v13, v46, 0xbacd, -v116
	v_pk_add_f16 v16, v19, v16
	v_pk_fma_f16 v19, 0x3b29, v37, v33 op_sel:[0,0,1] op_sel_hi:[0,1,0]
	v_pk_mul_f16 v31, 0xb461, v45 op_sel_hi:[0,1]
	v_pk_add_f16 v9, v49, v9
	v_pk_add_f16 v5, v10, v5
	v_pk_fma_f16 v10, 0xba62, v32, v35 op_sel:[0,0,1] op_sel_hi:[0,1,0] neg_lo:[0,1,0] neg_hi:[0,1,0]
	v_add_f16_e64 v149, v167, v149
	v_fma_f16 v167, 0x3b76, v42, v109
	v_fmac_f16_e32 v99, 0xb5c8, v32
	v_add_f16_e32 v12, v13, v12
	v_pk_add_f16 v13, v55, v15
	v_alignbit_b32 v32, s0, v19, 16
	v_pk_fma_f16 v34, 0xbbb2, v38, v31 op_sel:[0,0,1] op_sel_hi:[0,1,0]
	v_pk_mul_f16 v35, 0x2de8, v46 op_sel_hi:[0,1]
	v_pk_add_f16 v9, v30, v9
	v_pk_add_f16 v5, v10, v5
	v_pk_fma_f16 v10, 0x3b29, v37, v33 op_sel:[0,0,1] op_sel_hi:[0,1,0] neg_lo:[0,1,0] neg_hi:[0,1,0]
	v_add_f16_e64 v149, v167, v149
	v_fma_f16 v167, 0x2de8, v45, v112
	v_add_f16_e32 v51, v99, v51
	v_fmac_f16_e32 v100, 0xb1e1, v37
	v_fmac_f16_e32 v120, 0xb964, v37
	v_fmac_f16_e64 v143, 0x3bf7, v37
	v_pk_add_f16 v13, v56, v13
	v_pk_add_f16 v16, v32, v16
	v_alignbit_b32 v30, s0, v34, 16
	v_pk_fma_f16 v32, 0x3bf7, v39, v35 op_sel:[0,0,1] op_sel_hi:[0,1,0]
	v_pk_add_f16 v9, v19, v9
	v_pk_add_f16 v5, v10, v5
	v_pk_fma_f16 v10, 0xbbb2, v38, v31 op_sel:[0,0,1] op_sel_hi:[0,1,0] neg_lo:[0,1,0] neg_hi:[0,1,0]
	v_add_f16_e64 v149, v167, v149
	v_fma_f16 v167, 0xbacd, v46, v116
	v_bfi_b32 v71, 0xffff, v76, v77
	v_add_f16_e32 v51, v100, v51
	v_fmac_f16_e32 v102, 0x3964, v38
	v_add_f16_e32 v54, v120, v54
	v_fmac_f16_e32 v122, 0xb1e1, v38
	v_pk_add_f16 v14, v70, v14
	v_add_f16_e64 v60, v143, v60
	v_fmac_f16_e64 v144, 0xb5c8, v38
	v_pk_add_f16 v13, v57, v13
	v_pk_add_f16 v16, v30, v16
	v_alignbit_b32 v30, s0, v32, 16
	v_pk_add_f16 v9, v34, v9
	v_pk_add_f16 v5, v10, v5
	v_pk_fma_f16 v10, 0x3bf7, v39, v35 op_sel:[0,0,1] op_sel_hi:[0,1,0] neg_lo:[0,1,0] neg_hi:[0,1,0]
	v_add_f16_e64 v128, v154, v128
	v_add_f16_e64 v149, v167, v149
	v_bfi_b32 v72, 0xffff, v78, v79
	v_add_f16_e32 v51, v102, v51
	v_fmac_f16_e32 v104, 0xbbb2, v39
	v_add_f16_e32 v54, v122, v54
	v_fmac_f16_e32 v125, 0x3b29, v39
	v_pk_add_f16 v14, v71, v14
	v_add_f16_e64 v60, v144, v60
	v_fmac_f16_e64 v146, 0xba62, v39
	v_fmac_f16_e64 v164, 0x3964, v39
	v_fma_f16 v17, v46, 0x39e9, -v165
	v_lshl_add_u32 v15, v0, 6, v25
	v_pk_add_f16 v13, v58, v13
	v_pk_add_f16 v16, v30, v16
	;; [unrolled: 1-line block ×4, first 2 shown]
	v_add_f16_e32 v51, v104, v51
	v_add_f16_e32 v54, v125, v54
	v_pk_add_f16 v14, v72, v14
	v_pack_b32_f16 v44, v149, v128
	v_add_f16_e64 v60, v146, v60
	v_add_f16_e64 v62, v164, v62
	v_add_f16_e32 v17, v17, v63
	v_pack_b32_f16 v47, v88, v87
	v_pack_b32_f16 v19, v84, v85
	;; [unrolled: 1-line block ×4, first 2 shown]
	ds_store_2addr_b32 v15, v8, v13 offset1:1
	ds_store_2addr_b32 v15, v14, v44 offset0:2 offset1:3
	ds_store_2addr_b32 v15, v19, v47 offset0:4 offset1:5
	;; [unrolled: 1-line block ×3, first 2 shown]
	v_alignbit_b32 v6, v9, v5, 16
	v_pack_b32_f16 v5, v16, v5
	v_pack_b32_f16 v8, v59, v54
	;; [unrolled: 1-line block ×6, first 2 shown]
	v_perm_b32 v12, v1, v7, 0x5040100
	v_perm_b32 v14, v26, v4, 0x5040100
	ds_store_2addr_b32 v15, v5, v6 offset0:8 offset1:9
	ds_store_2addr_b32 v15, v9, v8 offset0:10 offset1:11
	;; [unrolled: 1-line block ×4, first 2 shown]
	ds_store_b32 v15, v14 offset:64
.LBB0_13:
	s_wait_alu 0xfffe
	s_or_b32 exec_lo, exec_lo, s1
	v_and_b32_e32 v5, 0xff, v0
	v_add_nc_u32_e32 v31, 0x66, v0
	v_add_nc_u32_e32 v30, 0xcc, v0
	;; [unrolled: 1-line block ×4, first 2 shown]
	v_mul_lo_u16 v5, 0xf1, v5
	v_and_b32_e32 v8, 0xff, v31
	v_and_b32_e32 v32, 0xffff, v30
	;; [unrolled: 1-line block ×4, first 2 shown]
	v_lshrrev_b16 v33, 12, v5
	v_mul_lo_u16 v5, 0xf1, v8
	v_mul_u32_u24_e32 v13, 0xf0f1, v32
	global_wb scope:SCOPE_SE
	s_wait_dscnt 0x0
	s_barrier_signal -1
	v_mul_lo_u16 v12, v33, 17
	v_lshrrev_b16 v42, 12, v5
	v_mul_u32_u24_e32 v5, 0xf0f1, v10
	v_mul_u32_u24_e32 v10, 0xf0f1, v11
	v_lshrrev_b32_e32 v43, 20, v13
	v_sub_nc_u16 v11, v0, v12
	v_mul_lo_u16 v12, v42, 17
	v_lshrrev_b32_e32 v44, 20, v5
	v_lshrrev_b32_e32 v45, 20, v10
	v_mul_lo_u16 v5, v43, 17
	v_and_b32_e32 v46, 0xff, v11
	v_sub_nc_u16 v10, v31, v12
	v_mul_lo_u16 v11, v44, 17
	v_mul_lo_u16 v12, v45, 17
	v_sub_nc_u16 v14, v30, v5
	v_lshlrev_b32_e32 v13, 3, v46
	v_and_b32_e32 v47, 0xff, v10
	v_sub_nc_u16 v10, v6, v11
	v_sub_nc_u16 v9, v9, v12
	v_and_b32_e32 v48, 0xffff, v14
	s_barrier_wait -1
	global_inv scope:SCOPE_SE
	v_and_b32_e32 v49, 0xffff, v10
	v_lshlrev_b32_e32 v10, 3, v47
	v_and_b32_e32 v9, 0xffff, v9
	global_load_b64 v[5:6], v13, s[4:5]
	v_lshlrev_b32_e32 v11, 3, v48
	v_lshlrev_b32_e32 v16, 3, v49
	global_load_b64 v[12:13], v10, s[4:5]
	v_lshlrev_b32_e32 v10, 3, v9
	s_clause 0x2
	global_load_b64 v[14:15], v11, s[4:5]
	global_load_b64 v[16:17], v16, s[4:5]
	;; [unrolled: 1-line block ×3, first 2 shown]
	v_add_nc_u32_e32 v51, 0xe00, v25
	ds_load_2addr_b32 v[20:21], v25 offset1:102
	ds_load_2addr_b32 v[34:35], v22 offset0:76 offset1:178
	ds_load_2addr_b32 v[36:37], v24 offset0:100 offset1:202
	;; [unrolled: 1-line block ×5, first 2 shown]
	ds_load_b32 v50, v25 offset:5712
	v_and_b32_e32 v33, 0xffff, v33
	v_and_b32_e32 v42, 0xffff, v42
	v_lshlrev_b32_e32 v46, 2, v46
	ds_load_2addr_b32 v[23:24], v51 offset0:124 offset1:226
	v_mul_u32_u24_e32 v43, 0xcc, v43
	v_mul_u32_u24_e32 v33, 0xcc, v33
	;; [unrolled: 1-line block ×5, first 2 shown]
	v_lshlrev_b32_e32 v9, 2, v9
	v_add3_u32 v46, 0, v33, v46
	v_lshlrev_b32_e32 v33, 2, v47
	v_lshlrev_b32_e32 v47, 2, v48
	;; [unrolled: 1-line block ×3, first 2 shown]
	v_add3_u32 v9, 0, v45, v9
	s_wait_dscnt 0x5
	v_lshrrev_b32_e32 v56, 16, v37
	v_add3_u32 v42, 0, v42, v33
	v_add3_u32 v43, 0, v43, v47
	s_wait_dscnt 0x2
	v_lshrrev_b32_e32 v63, 16, v11
	v_lshrrev_b32_e32 v64, 16, v36
	v_add3_u32 v44, 0, v44, v48
	v_lshrrev_b32_e32 v57, 16, v38
	v_lshrrev_b32_e32 v59, 16, v40
	s_wait_dscnt 0x0
	v_lshrrev_b32_e32 v65, 16, v23
	v_lshrrev_b32_e32 v66, 16, v24
	;; [unrolled: 1-line block ×10, first 2 shown]
	global_wb scope:SCOPE_SE
	s_wait_loadcnt 0x0
	s_barrier_signal -1
	s_barrier_wait -1
	global_inv scope:SCOPE_SE
	v_add_nc_u32_e32 v52, 0x600, v25
	v_cmp_gt_u32_e64 s0, 51, v0
	v_lshrrev_b32_e32 v33, 16, v5
	v_lshrrev_b32_e32 v47, 16, v6
	;; [unrolled: 1-line block ×4, first 2 shown]
	s_delay_alu instid0(VALU_DEP_4)
	v_mul_f16_e32 v45, v33, v63
	v_mul_f16_e32 v33, v33, v11
	;; [unrolled: 1-line block ×4, first 2 shown]
	v_lshrrev_b32_e32 v68, 16, v14
	v_lshrrev_b32_e32 v69, 16, v15
	;; [unrolled: 1-line block ×6, first 2 shown]
	v_fmac_f16_e32 v45, v5, v11
	v_fma_f16 v5, v5, v63, -v33
	v_fmac_f16_e32 v48, v6, v23
	v_fma_f16 v6, v6, v65, -v47
	v_mul_f16_e32 v11, v49, v64
	v_mul_f16_e32 v23, v49, v36
	;; [unrolled: 1-line block ×16, first 2 shown]
	v_fmac_f16_e32 v11, v12, v36
	v_fma_f16 v12, v12, v64, -v23
	v_fmac_f16_e32 v33, v13, v24
	v_fma_f16 v13, v13, v66, -v47
	v_fmac_f16_e32 v49, v37, v14
	v_add_f16_e32 v24, v45, v48
	v_sub_f16_e32 v36, v5, v6
	v_add_f16_e32 v37, v53, v5
	v_add_f16_e32 v5, v5, v6
	v_fma_f16 v14, v56, v14, -v63
	v_fmac_f16_e32 v65, v38, v15
	v_fma_f16 v15, v57, v15, -v67
	v_fmac_f16_e32 v68, v40, v16
	v_fma_f16 v16, v59, v16, -v69
	v_fmac_f16_e32 v70, v39, v17
	v_fma_f16 v17, v60, v17, -v71
	v_fmac_f16_e32 v74, v41, v18
	v_fma_f16 v18, v61, v18, -v72
	v_fmac_f16_e32 v75, v50, v19
	v_fma_f16 v19, v62, v19, -v73
	v_add_f16_e32 v23, v20, v45
	v_sub_f16_e32 v38, v45, v48
	v_fma_f16 v20, -0.5, v24, v20
	v_add_f16_e32 v6, v37, v6
	v_fmac_f16_e32 v53, -0.5, v5
	v_add_f16_e32 v24, v11, v33
	v_sub_f16_e32 v37, v12, v13
	v_add_f16_e32 v39, v54, v12
	v_add_f16_e32 v12, v12, v13
	v_add_f16_e32 v41, v49, v65
	v_sub_f16_e32 v45, v14, v15
	v_add_f16_e32 v47, v55, v14
	v_add_f16_e32 v14, v14, v15
	;; [unrolled: 4-line block ×4, first 2 shown]
	v_add_f16_e32 v23, v23, v48
	v_add_f16_e32 v5, v21, v11
	v_sub_f16_e32 v40, v11, v33
	v_fmamk_f16 v66, v36, 0xbaee, v20
	v_fmac_f16_e32 v20, 0x3aee, v36
	v_fmamk_f16 v36, v38, 0x3aee, v53
	v_fmac_f16_e32 v21, -0.5, v24
	v_fmac_f16_e32 v54, -0.5, v12
	v_fmac_f16_e32 v53, 0xbaee, v38
	v_add_f16_e32 v11, v34, v49
	v_sub_f16_e32 v48, v49, v65
	v_add_f16_e32 v49, v35, v68
	v_fma_f16 v38, -0.5, v41, v34
	v_fmac_f16_e32 v55, -0.5, v14
	v_sub_f16_e32 v59, v68, v70
	v_add_f16_e32 v60, v10, v74
	v_sub_f16_e32 v64, v74, v75
	v_fmac_f16_e32 v35, -0.5, v50
	v_fmac_f16_e32 v58, -0.5, v16
	;; [unrolled: 1-line block ×4, first 2 shown]
	v_add_f16_e32 v5, v5, v33
	v_add_f16_e32 v13, v39, v13
	v_pack_b32_f16 v6, v23, v6
	v_fmamk_f16 v16, v37, 0xbaee, v21
	v_fmamk_f16 v18, v40, 0x3aee, v54
	v_pack_b32_f16 v36, v66, v36
	v_fmac_f16_e32 v21, 0x3aee, v37
	v_fmac_f16_e32 v54, 0xbaee, v40
	v_pack_b32_f16 v20, v20, v53
	v_add_f16_e32 v24, v11, v65
	v_add_f16_e32 v15, v47, v15
	;; [unrolled: 1-line block ×5, first 2 shown]
	v_fmamk_f16 v19, v45, 0xbaee, v38
	v_fmamk_f16 v23, v48, 0x3aee, v55
	v_fmac_f16_e32 v38, 0x3aee, v45
	v_fmac_f16_e32 v55, 0xbaee, v48
	v_add_f16_e32 v11, v60, v75
	v_fmamk_f16 v37, v56, 0xbaee, v35
	v_fmac_f16_e32 v35, 0x3aee, v56
	v_fmamk_f16 v39, v59, 0x3aee, v58
	v_fmac_f16_e32 v58, 0xbaee, v59
	;; [unrolled: 2-line block ×4, first 2 shown]
	v_pack_b32_f16 v5, v5, v13
	ds_store_2addr_b32 v46, v6, v36 offset1:17
	ds_store_b32 v46, v20 offset:136
	v_pack_b32_f16 v6, v16, v18
	v_pack_b32_f16 v16, v21, v54
	v_pack_b32_f16 v13, v24, v15
	v_pack_b32_f16 v14, v14, v17
	v_pack_b32_f16 v17, v19, v23
	v_pack_b32_f16 v18, v38, v55
	v_pack_b32_f16 v15, v11, v33
	v_pack_b32_f16 v19, v37, v39
	v_pack_b32_f16 v20, v35, v58
	v_pack_b32_f16 v21, v12, v34
	v_pack_b32_f16 v23, v10, v29
	ds_store_2addr_b32 v42, v5, v6 offset1:17
	ds_store_b32 v42, v16 offset:136
	ds_store_2addr_b32 v43, v13, v17 offset1:17
	ds_store_b32 v43, v18 offset:136
	;; [unrolled: 2-line block ×4, first 2 shown]
	global_wb scope:SCOPE_SE
	s_wait_dscnt 0x0
	s_barrier_signal -1
	s_barrier_wait -1
	global_inv scope:SCOPE_SE
	ds_load_2addr_b32 v[13:14], v25 offset1:102
	ds_load_2addr_b32 v[23:24], v22 offset0:127 offset1:229
	ds_load_2addr_b32 v[21:22], v52 offset0:126 offset1:228
	;; [unrolled: 1-line block ×5, first 2 shown]
                                        ; implicit-def: $vgpr27
	s_and_saveexec_b32 s1, s0
	s_cbranch_execz .LBB0_15
; %bb.14:
	v_add_nc_u32_e32 v1, 0x330, v25
	v_add_nc_u32_e32 v4, 0xb28, v25
	;; [unrolled: 1-line block ×3, first 2 shown]
	ds_load_2addr_b32 v[11:12], v1 offset1:255
	ds_load_2addr_b32 v[6:7], v4 offset1:255
	;; [unrolled: 1-line block ×3, first 2 shown]
	s_wait_dscnt 0x2
	v_lshrrev_b32_e32 v33, 16, v11
	s_wait_dscnt 0x1
	v_mov_b32_e32 v10, v6
	v_lshrrev_b32_e32 v34, 16, v12
	v_lshrrev_b32_e32 v29, 16, v6
	;; [unrolled: 1-line block ×3, first 2 shown]
	s_wait_dscnt 0x0
	v_lshrrev_b32_e32 v26, 16, v4
	v_lshrrev_b32_e32 v27, 16, v5
.LBB0_15:
	s_wait_alu 0xfffe
	s_or_b32 exec_lo, exec_lo, s1
	v_subrev_nc_u32_e32 v6, 51, v0
	v_mul_lo_u16 v8, 0xa1, v8
	v_mov_b32_e32 v9, 0
	s_wait_dscnt 0x4
	v_lshrrev_b32_e32 v49, 16, v23
	s_wait_dscnt 0x2
	v_lshrrev_b32_e32 v51, 16, v19
	v_cndmask_b32_e64 v6, v6, v0, s0
	v_lshrrev_b16 v28, 13, v8
	s_wait_dscnt 0x1
	v_lshrrev_b32_e32 v52, 16, v17
	s_wait_dscnt 0x0
	v_lshrrev_b32_e32 v53, 16, v15
	v_lshrrev_b32_e32 v48, 16, v16
	v_mul_i32_i24_e32 v8, 5, v6
	v_mul_lo_u16 v37, v28, 51
	v_and_b32_e32 v28, 0xffff, v28
	v_lshlrev_b32_e32 v6, 2, v6
	v_lshrrev_b32_e32 v50, 16, v21
	v_lshlrev_b64_e32 v[35:36], 2, v[8:9]
	v_sub_nc_u16 v8, v31, v37
	v_mul_u32_u24_e32 v28, 0x4c8, v28
	v_lshrrev_b32_e32 v55, 16, v24
	v_lshrrev_b32_e32 v57, 16, v20
	;; [unrolled: 1-line block ×3, first 2 shown]
	v_and_b32_e32 v8, 0xff, v8
	v_add_co_u32 v39, s1, s4, v35
	s_wait_alu 0xf1ff
	v_add_co_ci_u32_e64 v40, s1, s5, v36, s1
	v_cmp_lt_u32_e64 s1, 50, v0
	v_lshrrev_b32_e32 v56, 16, v22
	s_clause 0x1
	global_load_b128 v[35:38], v[39:40], off offset:136
	global_load_b32 v43, v[39:40], off offset:152
	v_mul_u32_u24_e32 v39, 5, v8
	v_lshlrev_b32_e32 v8, 2, v8
	s_wait_alu 0xf1ff
	v_cndmask_b32_e64 v54, 0, 0x4c8, s1
	v_lshrrev_b32_e32 v45, 16, v13
	v_lshrrev_b32_e32 v46, 16, v14
	v_lshlrev_b32_e32 v44, 2, v39
	v_add3_u32 v8, 0, v28, v8
	v_add3_u32 v6, 0, v54, v6
	s_clause 0x1
	global_load_b128 v[39:42], v44, s[4:5] offset:136
	global_load_b32 v44, v44, s[4:5] offset:152
	global_wb scope:SCOPE_SE
	s_wait_loadcnt 0x0
	s_barrier_signal -1
	s_barrier_wait -1
	global_inv scope:SCOPE_SE
	v_lshrrev_b32_e32 v28, 16, v35
	v_lshrrev_b32_e32 v58, 16, v37
	;; [unrolled: 1-line block ×5, first 2 shown]
	v_mul_f16_e32 v61, v28, v49
	v_mul_f16_e32 v28, v28, v23
	;; [unrolled: 1-line block ×8, first 2 shown]
	v_lshrrev_b32_e32 v66, 16, v39
	v_lshrrev_b32_e32 v68, 16, v41
	;; [unrolled: 1-line block ×3, first 2 shown]
	v_mul_f16_e32 v62, v54, v50
	v_mul_f16_e32 v54, v54, v21
	v_lshrrev_b32_e32 v67, 16, v40
	v_lshrrev_b32_e32 v69, 16, v42
	v_fmac_f16_e32 v61, v35, v23
	v_fma_f16 v23, v35, v49, -v28
	v_fmac_f16_e32 v63, v37, v19
	v_fma_f16 v19, v37, v51, -v58
	;; [unrolled: 2-line block ×4, first 2 shown]
	v_mul_f16_e32 v28, v66, v55
	v_mul_f16_e32 v35, v66, v24
	;; [unrolled: 1-line block ×6, first 2 shown]
	v_fmac_f16_e32 v62, v36, v21
	v_fma_f16 v21, v36, v50, -v54
	v_mul_f16_e32 v36, v67, v56
	v_mul_f16_e32 v37, v67, v22
	;; [unrolled: 1-line block ×4, first 2 shown]
	v_sub_f16_e32 v67, v19, v15
	v_add_f16_e32 v68, v23, v19
	v_add_f16_e32 v19, v19, v15
	v_fmac_f16_e32 v28, v39, v24
	v_fma_f16 v24, v39, v55, -v35
	v_fmac_f16_e32 v38, v41, v20
	v_fma_f16 v20, v41, v57, -v43
	;; [unrolled: 2-line block ×3, first 2 shown]
	v_add_f16_e32 v53, v13, v62
	v_add_f16_e32 v54, v62, v64
	v_sub_f16_e32 v58, v21, v17
	v_add_f16_e32 v59, v45, v21
	v_add_f16_e32 v21, v21, v17
	v_sub_f16_e32 v60, v62, v64
	;; [unrolled: 3-line block ×3, first 2 shown]
	v_fmac_f16_e32 v36, v40, v22
	v_fma_f16 v22, v40, v56, -v37
	v_fmac_f16_e32 v49, v18, v42
	v_fma_f16 v18, v47, v42, -v50
	v_fmac_f16_e32 v23, -0.5, v19
	v_sub_f16_e32 v43, v20, v16
	v_add_f16_e32 v44, v24, v20
	v_add_f16_e32 v20, v20, v16
	;; [unrolled: 1-line block ×4, first 2 shown]
	v_fmac_f16_e32 v45, -0.5, v21
	v_add_f16_e32 v21, v62, v65
	v_fmac_f16_e32 v61, -0.5, v66
	v_add_f16_e32 v15, v68, v15
	v_add_f16_e32 v19, v14, v36
	;; [unrolled: 1-line block ×3, first 2 shown]
	v_sub_f16_e32 v39, v22, v18
	v_add_f16_e32 v40, v46, v22
	v_add_f16_e32 v22, v22, v18
	v_add_f16_e32 v41, v28, v38
	v_add_f16_e32 v42, v38, v51
	v_sub_f16_e32 v38, v38, v51
	v_fmamk_f16 v52, v63, 0x3aee, v23
	v_fmac_f16_e32 v23, 0xbaee, v63
	v_fmac_f16_e32 v24, -0.5, v20
	v_fma_f16 v13, -0.5, v54, v13
	v_sub_f16_e32 v36, v36, v49
	v_fmamk_f16 v50, v67, 0xbaee, v61
	v_fmac_f16_e32 v61, 0x3aee, v67
	v_add_f16_e32 v53, v35, v21
	v_add_f16_e32 v54, v17, v15
	v_sub_f16_e32 v21, v35, v21
	v_sub_f16_e32 v15, v17, v15
	v_add_f16_e32 v17, v19, v49
	v_fmac_f16_e32 v14, -0.5, v37
	v_add_f16_e32 v18, v40, v18
	v_fmac_f16_e32 v46, -0.5, v22
	;; [unrolled: 2-line block ×3, first 2 shown]
	v_add_f16_e32 v16, v44, v16
	v_mul_f16_e32 v20, 0xbaee, v52
	v_mul_f16_e32 v22, 0xbaee, v23
	v_mul_f16_e32 v35, 0.5, v52
	v_fmamk_f16 v40, v38, 0x3aee, v24
	v_mul_f16_e32 v23, -0.5, v23
	v_fmac_f16_e32 v24, 0xbaee, v38
	v_fmamk_f16 v47, v58, 0xbaee, v13
	v_fmac_f16_e32 v13, 0x3aee, v58
	v_fmamk_f16 v48, v60, 0x3aee, v45
	v_pack_b32_f16 v15, v21, v15
	v_fmamk_f16 v21, v39, 0xbaee, v14
	v_fmac_f16_e32 v14, 0x3aee, v39
	v_fmamk_f16 v39, v36, 0x3aee, v46
	v_fmac_f16_e32 v46, 0xbaee, v36
	v_fmamk_f16 v36, v43, 0xbaee, v28
	v_add_f16_e32 v38, v17, v19
	v_add_f16_e32 v41, v18, v16
	v_sub_f16_e32 v17, v17, v19
	v_sub_f16_e32 v16, v18, v16
	v_fmac_f16_e32 v20, 0.5, v50
	v_fmac_f16_e32 v22, -0.5, v61
	v_fmac_f16_e32 v35, 0x3aee, v50
	v_mul_f16_e32 v18, 0xbaee, v40
	v_mul_f16_e32 v40, 0.5, v40
	v_fmac_f16_e32 v45, 0xbaee, v60
	v_fmac_f16_e32 v28, 0x3aee, v43
	;; [unrolled: 1-line block ×3, first 2 shown]
	v_mul_f16_e32 v19, 0xbaee, v24
	v_mul_f16_e32 v24, -0.5, v24
	v_pack_b32_f16 v38, v38, v41
	v_pack_b32_f16 v16, v17, v16
	v_add_f16_e32 v17, v47, v20
	v_add_f16_e32 v41, v13, v22
	;; [unrolled: 1-line block ×3, first 2 shown]
	v_sub_f16_e32 v20, v47, v20
	v_sub_f16_e32 v13, v13, v22
	;; [unrolled: 1-line block ×3, first 2 shown]
	v_fmac_f16_e32 v18, 0.5, v36
	v_fmac_f16_e32 v40, 0x3aee, v36
	v_add_f16_e32 v43, v45, v23
	v_sub_f16_e32 v23, v45, v23
	v_fmac_f16_e32 v19, -0.5, v28
	v_fmac_f16_e32 v24, 0x3aee, v28
	v_pack_b32_f16 v37, v53, v54
	v_pack_b32_f16 v17, v17, v42
	;; [unrolled: 1-line block ×3, first 2 shown]
	v_add_f16_e32 v22, v21, v18
	v_add_f16_e32 v35, v39, v40
	v_pack_b32_f16 v13, v13, v23
	v_add_f16_e32 v23, v14, v19
	v_add_f16_e32 v36, v46, v24
	v_sub_f16_e32 v18, v21, v18
	v_sub_f16_e32 v14, v14, v19
	;; [unrolled: 1-line block ×4, first 2 shown]
	v_pack_b32_f16 v28, v41, v43
	ds_store_2addr_b32 v6, v37, v17 offset1:51
	v_pack_b32_f16 v17, v22, v35
	v_pack_b32_f16 v22, v23, v36
	;; [unrolled: 1-line block ×4, first 2 shown]
	ds_store_2addr_b32 v6, v28, v15 offset0:102 offset1:153
	ds_store_2addr_b32 v6, v20, v13 offset0:204 offset1:255
	ds_store_2addr_b32 v8, v38, v17 offset1:51
	ds_store_2addr_b32 v8, v22, v16 offset0:102 offset1:153
	ds_store_2addr_b32 v8, v18, v14 offset0:204 offset1:255
	s_and_saveexec_b32 s1, s0
	s_cbranch_execz .LBB0_17
; %bb.16:
	v_mul_u32_u24_e32 v6, 0xa0a1, v32
	s_delay_alu instid0(VALU_DEP_1) | instskip(NEXT) | instid1(VALU_DEP_1)
	v_lshrrev_b32_e32 v6, 21, v6
	v_mul_lo_u16 v6, v6, 51
	s_delay_alu instid0(VALU_DEP_1) | instskip(NEXT) | instid1(VALU_DEP_1)
	v_sub_nc_u16 v6, v30, v6
	v_and_b32_e32 v6, 0xffff, v6
	s_delay_alu instid0(VALU_DEP_1) | instskip(SKIP_1) | instid1(VALU_DEP_2)
	v_mul_u32_u24_e32 v8, 5, v6
	v_lshl_add_u32 v6, v6, 2, 0
	v_lshlrev_b32_e32 v8, 2, v8
	s_delay_alu instid0(VALU_DEP_2)
	v_add_nc_u32_e32 v17, 0x1000, v6
	v_add_nc_u32_e32 v6, 0x1400, v6
	s_clause 0x1
	global_load_b128 v[13:16], v8, s[4:5] offset:136
	global_load_b32 v8, v8, s[4:5] offset:152
	s_wait_loadcnt 0x1
	v_lshrrev_b32_e32 v19, 16, v16
	v_lshrrev_b32_e32 v21, 16, v15
	s_wait_loadcnt 0x0
	v_lshrrev_b32_e32 v22, 16, v8
	v_lshrrev_b32_e32 v18, 16, v14
	;; [unrolled: 1-line block ×3, first 2 shown]
	v_mul_f16_e32 v24, v4, v19
	v_mul_f16_e32 v19, v26, v19
	;; [unrolled: 1-line block ×10, first 2 shown]
	v_fmac_f16_e32 v19, v4, v16
	v_fma_f16 v1, v1, v15, -v21
	v_fma_f16 v4, v27, v8, -v22
	;; [unrolled: 1-line block ×4, first 2 shown]
	v_fmac_f16_e32 v18, v10, v14
	v_fmac_f16_e32 v28, v12, v13
	;; [unrolled: 1-line block ×4, first 2 shown]
	v_fma_f16 v5, v34, v13, -v20
	v_add_f16_e32 v13, v1, v4
	v_add_f16_e32 v7, v23, v24
	v_sub_f16_e32 v8, v18, v19
	v_add_f16_e32 v10, v32, v35
	v_sub_f16_e32 v12, v1, v4
	v_sub_f16_e32 v14, v32, v35
	v_add_f16_e32 v15, v33, v23
	v_add_f16_e32 v1, v5, v1
	;; [unrolled: 1-line block ×4, first 2 shown]
	v_fma_f16 v5, -0.5, v13, v5
	v_add_f16_e32 v21, v28, v32
	v_sub_f16_e32 v20, v23, v24
	v_fma_f16 v7, -0.5, v7, v33
	v_fma_f16 v10, -0.5, v10, v28
	v_add_f16_e32 v13, v15, v24
	v_add_f16_e32 v1, v1, v4
	v_fma_f16 v4, -0.5, v16, v11
	v_add_f16_e32 v11, v18, v19
	v_fmamk_f16 v19, v14, 0xbaee, v5
	v_fmac_f16_e32 v5, 0x3aee, v14
	v_add_f16_e32 v15, v21, v35
	v_fmamk_f16 v16, v8, 0xbaee, v7
	v_fmamk_f16 v18, v12, 0x3aee, v10
	v_fmac_f16_e32 v7, 0x3aee, v8
	v_fmac_f16_e32 v10, 0xbaee, v12
	v_sub_f16_e32 v8, v13, v1
	v_fmamk_f16 v12, v20, 0x3aee, v4
	v_fmac_f16_e32 v4, 0xbaee, v20
	v_add_f16_e32 v1, v13, v1
	v_mul_f16_e32 v13, -0.5, v19
	v_mul_f16_e32 v20, 0.5, v5
	v_mul_f16_e32 v5, 0xbaee, v5
	v_sub_f16_e32 v14, v11, v15
	v_add_f16_e32 v11, v11, v15
	v_mul_f16_e32 v15, 0xbaee, v19
	v_fmac_f16_e32 v13, 0x3aee, v18
	v_fmac_f16_e32 v20, 0x3aee, v10
	v_fmac_f16_e32 v5, 0.5, v10
	v_pack_b32_f16 v1, v11, v1
	v_fmac_f16_e32 v15, -0.5, v18
	v_sub_f16_e32 v10, v16, v13
	v_sub_f16_e32 v11, v7, v20
	v_add_f16_e32 v13, v16, v13
	v_add_f16_e32 v7, v7, v20
	;; [unrolled: 1-line block ×4, first 2 shown]
	v_sub_f16_e32 v4, v4, v5
	v_sub_f16_e32 v5, v12, v15
	v_pack_b32_f16 v8, v14, v8
	v_pack_b32_f16 v7, v16, v7
	;; [unrolled: 1-line block ×5, first 2 shown]
	ds_store_2addr_b32 v17, v1, v7 offset0:200 offset1:251
	ds_store_2addr_b32 v6, v12, v8 offset0:46 offset1:97
	;; [unrolled: 1-line block ×3, first 2 shown]
.LBB0_17:
	s_wait_alu 0xfffe
	s_or_b32 exec_lo, exec_lo, s1
	v_dual_mov_b32 v7, v9 :: v_dual_lshlrev_b32 v8, 2, v0
	v_dual_mov_b32 v11, v9 :: v_dual_lshlrev_b32 v6, 2, v31
	v_lshlrev_b32_e32 v10, 2, v30
	s_delay_alu instid0(VALU_DEP_3)
	v_lshlrev_b64_e32 v[4:5], 2, v[8:9]
	global_wb scope:SCOPE_SE
	s_wait_dscnt 0x0
	v_lshlrev_b64_e32 v[6:7], 2, v[6:7]
	s_barrier_signal -1
	v_lshlrev_b64_e32 v[9:10], 2, v[10:11]
	s_barrier_wait -1
	v_add_co_u32 v4, s1, s4, v4
	s_wait_alu 0xf1ff
	v_add_co_ci_u32_e64 v5, s1, s5, v5, s1
	global_inv scope:SCOPE_SE
	v_add_nc_u32_e32 v11, 0x800, v25
	v_add_nc_u32_e32 v13, 0x1200, v25
	global_load_b128 v[14:17], v[4:5], off offset:1156
	v_add_co_u32 v4, s1, s4, v6
	s_wait_alu 0xf1ff
	v_add_co_ci_u32_e64 v5, s1, s5, v7, s1
	v_add_co_u32 v6, s1, s4, v9
	s_wait_alu 0xf1ff
	v_add_co_ci_u32_e64 v7, s1, s5, v10, s1
	s_clause 0x1
	global_load_b128 v[18:21], v[4:5], off offset:1156
	global_load_b128 v[26:29], v[6:7], off offset:1156
	v_add_nc_u32_e32 v10, 0xe00, v25
	v_add_nc_u32_e32 v1, 0x200, v25
	ds_load_2addr_b32 v[4:5], v25 offset1:102
	v_add_nc_u32_e32 v9, 0xc00, v25
	v_add_nc_u32_e32 v12, 0x400, v25
	ds_load_b32 v24, v25 offset:5712
	ds_load_2addr_b32 v[22:23], v11 offset0:100 offset1:202
	ds_load_2addr_b32 v[30:31], v10 offset0:124 offset1:226
	ds_load_2addr_b32 v[32:33], v13 offset0:72 offset1:174
	ds_load_2addr_b32 v[6:7], v1 offset0:76 offset1:178
	ds_load_2addr_b32 v[34:35], v12 offset0:152 offset1:254
	ds_load_2addr_b32 v[36:37], v9 offset0:48 offset1:150
	ds_load_u16 v38, v25 offset:1634
	global_wb scope:SCOPE_SE
	s_wait_loadcnt_dscnt 0x0
	s_barrier_signal -1
	s_barrier_wait -1
	global_inv scope:SCOPE_SE
	v_sub_nc_u32_e32 v8, 0, v8
	s_mov_b32 s2, exec_lo
	v_lshrrev_b32_e32 v41, 16, v24
	v_lshrrev_b32_e32 v42, 16, v23
	;; [unrolled: 1-line block ×18, first 2 shown]
	s_delay_alu instid0(VALU_DEP_4)
	v_mul_f16_e32 v65, v53, v49
	v_mul_f16_e32 v53, v53, v7
	;; [unrolled: 1-line block ×5, first 2 shown]
	v_lshrrev_b32_e32 v57, 16, v18
	v_lshrrev_b32_e32 v58, 16, v19
	;; [unrolled: 1-line block ×8, first 2 shown]
	v_mul_f16_e32 v55, v55, v37
	v_mul_f16_e32 v68, v56, v52
	;; [unrolled: 1-line block ×19, first 2 shown]
	v_fmac_f16_e32 v65, v14, v7
	v_fma_f16 v7, v14, v49, -v53
	v_fmac_f16_e32 v66, v15, v22
	v_fma_f16 v14, v15, v50, -v54
	;; [unrolled: 2-line block ×8, first 2 shown]
	v_fma_f16 v21, v46, v26, -v61
	v_fmac_f16_e32 v74, v36, v27
	v_fma_f16 v22, v47, v27, -v62
	v_fmac_f16_e32 v75, v31, v28
	;; [unrolled: 2-line block ×3, first 2 shown]
	v_fmac_f16_e32 v76, v24, v29
	v_fma_f16 v24, v41, v29, -v64
	v_add_f16_e32 v26, v4, v65
	v_add_f16_e32 v27, v66, v67
	v_sub_f16_e32 v30, v65, v66
	v_sub_f16_e32 v31, v68, v67
	v_add_f16_e32 v32, v65, v68
	v_sub_f16_e32 v33, v66, v65
	v_sub_f16_e32 v34, v67, v68
	v_add_f16_e32 v35, v39, v7
	v_add_f16_e32 v36, v14, v15
	v_sub_f16_e32 v41, v7, v14
	v_sub_f16_e32 v42, v16, v15
	v_add_f16_e32 v43, v7, v16
	v_add_f16_e32 v46, v5, v69
	;; [unrolled: 1-line block ×7, first 2 shown]
	v_sub_f16_e32 v50, v69, v70
	v_sub_f16_e32 v51, v72, v71
	v_add_f16_e32 v64, v74, v75
	v_add_f16_e32 v82, v45, v21
	;; [unrolled: 1-line block ×5, first 2 shown]
	v_sub_f16_e32 v28, v7, v16
	v_sub_f16_e32 v29, v14, v15
	;; [unrolled: 1-line block ×12, first 2 shown]
	v_add_f16_e32 v26, v26, v66
	v_fma_f16 v27, -0.5, v27, v4
	v_add_f16_e32 v30, v30, v31
	v_fma_f16 v4, -0.5, v32, v4
	v_add_f16_e32 v31, v33, v34
	v_add_f16_e32 v14, v35, v14
	v_fma_f16 v32, -0.5, v36, v39
	v_add_f16_e32 v33, v41, v42
	v_fmac_f16_e32 v39, -0.5, v43
	v_add_f16_e32 v34, v46, v70
	v_fma_f16 v35, -0.5, v47, v5
	v_fmac_f16_e32 v5, -0.5, v52
	v_add_f16_e32 v18, v55, v18
	v_fma_f16 v42, -0.5, v56, v40
	v_fmac_f16_e32 v40, -0.5, v61
	v_sub_f16_e32 v37, v65, v68
	v_sub_f16_e32 v57, v69, v72
	;; [unrolled: 1-line block ×3, first 2 shown]
	v_add_f16_e32 v63, v6, v73
	v_sub_f16_e32 v65, v21, v24
	v_sub_f16_e32 v69, v22, v23
	;; [unrolled: 1-line block ×7, first 2 shown]
	v_add_f16_e32 v36, v50, v51
	v_fma_f16 v46, -0.5, v64, v6
	v_add_f16_e32 v22, v82, v22
	v_fma_f16 v51, -0.5, v83, v45
	v_sub_f16_e32 v62, v19, v20
	v_sub_f16_e32 v84, v74, v75
	v_fmac_f16_e32 v6, -0.5, v79
	v_fmac_f16_e32 v45, -0.5, v87
	v_add_f16_e32 v41, v53, v54
	v_add_f16_e32 v43, v59, v60
	;; [unrolled: 1-line block ×3, first 2 shown]
	v_fmamk_f16 v54, v29, 0x3b9c, v4
	v_add_f16_e32 v14, v14, v15
	v_fmamk_f16 v55, v38, 0xbb9c, v39
	v_fmac_f16_e32 v39, 0x3b9c, v38
	v_add_f16_e32 v34, v34, v71
	v_fmamk_f16 v59, v49, 0x3b9c, v5
	v_add_f16_e32 v18, v18, v19
	v_fmamk_f16 v60, v58, 0xbb9c, v40
	v_fmamk_f16 v53, v28, 0xbb9c, v27
	v_fmac_f16_e32 v27, 0x3b9c, v28
	v_fmamk_f16 v15, v37, 0x3b9c, v32
	v_fmac_f16_e32 v32, 0xbb9c, v37
	;; [unrolled: 2-line block ×4, first 2 shown]
	v_add_f16_e32 v7, v7, v44
	v_add_f16_e32 v44, v63, v74
	v_sub_f16_e32 v78, v76, v75
	v_sub_f16_e32 v86, v24, v23
	v_sub_f16_e32 v88, v23, v24
	v_fmamk_f16 v61, v65, 0xbb9c, v46
	v_add_f16_e32 v22, v22, v23
	v_fmamk_f16 v23, v73, 0x3b9c, v51
	v_sub_f16_e32 v81, v75, v76
	v_add_f16_e32 v17, v17, v62
	v_fmac_f16_e32 v4, 0xbb9c, v29
	v_fmamk_f16 v62, v69, 0x3b9c, v6
	v_fmac_f16_e32 v6, 0xbb9c, v69
	v_fmamk_f16 v63, v84, 0xbb9c, v45
	v_fmac_f16_e32 v45, 0x3b9c, v84
	v_fmac_f16_e32 v5, 0xbb9c, v49
	;; [unrolled: 1-line block ×5, first 2 shown]
	v_add_f16_e32 v26, v26, v68
	v_fmac_f16_e32 v54, 0xb8b4, v28
	v_add_f16_e32 v14, v14, v16
	v_fmac_f16_e32 v55, 0x38b4, v37
	v_fmac_f16_e32 v39, 0xb8b4, v37
	v_add_f16_e32 v16, v34, v72
	v_fmac_f16_e32 v59, 0xb8b4, v48
	v_add_f16_e32 v18, v18, v20
	v_fmac_f16_e32 v60, 0x38b4, v57
	v_fmac_f16_e32 v27, 0x38b4, v29
	;; [unrolled: 1-line block ×7, first 2 shown]
	v_add_f16_e32 v44, v44, v75
	v_fmac_f16_e32 v53, 0xb8b4, v29
	v_fmac_f16_e32 v15, 0x38b4, v38
	v_add_f16_e32 v47, v77, v78
	v_add_f16_e32 v52, v85, v86
	v_fmac_f16_e32 v61, 0xb8b4, v69
	v_fmac_f16_e32 v23, 0x38b4, v84
	v_add_f16_e32 v50, v80, v81
	v_add_f16_e32 v21, v21, v88
	v_fmac_f16_e32 v4, 0x38b4, v28
	v_fmac_f16_e32 v62, 0xb8b4, v65
	;; [unrolled: 1-line block ×14, first 2 shown]
	v_pack_b32_f16 v7, v26, v14
	v_pack_b32_f16 v14, v16, v18
	v_fmac_f16_e32 v27, 0x34f2, v30
	v_fmac_f16_e32 v32, 0x34f2, v33
	;; [unrolled: 1-line block ×6, first 2 shown]
	v_add_f16_e32 v20, v44, v76
	v_add_f16_e32 v22, v22, v24
	v_fmac_f16_e32 v53, 0x34f2, v30
	v_fmac_f16_e32 v15, 0x34f2, v33
	v_fmac_f16_e32 v61, 0x34f2, v47
	v_fmac_f16_e32 v23, 0x34f2, v52
	v_fmac_f16_e32 v4, 0x34f2, v31
	v_fmac_f16_e32 v62, 0x34f2, v50
	v_fmac_f16_e32 v6, 0x34f2, v50
	v_fmac_f16_e32 v63, 0x34f2, v21
	v_fmac_f16_e32 v45, 0x34f2, v21
	v_fmac_f16_e32 v5, 0x34f2, v41
	v_fmac_f16_e32 v40, 0x34f2, v17
	v_fmac_f16_e32 v46, 0x34f2, v47
	v_fmac_f16_e32 v51, 0x34f2, v52
	v_pack_b32_f16 v17, v54, v55
	ds_store_2addr_b32 v25, v7, v14 offset1:102
	v_pack_b32_f16 v14, v59, v60
	v_pack_b32_f16 v18, v27, v32
	;; [unrolled: 1-line block ×12, first 2 shown]
	ds_store_2addr_b32 v11, v17, v14 offset0:100 offset1:202
	ds_store_2addr_b32 v13, v18, v19 offset0:72 offset1:174
	;; [unrolled: 1-line block ×6, first 2 shown]
	ds_store_b32 v25, v22 offset:5712
	global_wb scope:SCOPE_SE
	s_wait_dscnt 0x0
	s_barrier_signal -1
	s_barrier_wait -1
	global_inv scope:SCOPE_SE
	ds_load_b32 v6, v25
                                        ; implicit-def: $vgpr11
                                        ; implicit-def: $vgpr10
                                        ; implicit-def: $vgpr9
                                        ; implicit-def: $vgpr4_vgpr5
	s_wait_dscnt 0x0
	v_lshrrev_b32_e32 v7, 16, v6
	v_cmpx_ne_u32_e32 0, v0
	s_wait_alu 0xfffe
	s_xor_b32 s2, exec_lo, s2
	s_cbranch_execz .LBB0_19
; %bb.18:
	v_mov_b32_e32 v1, 0
	s_delay_alu instid0(VALU_DEP_1) | instskip(NEXT) | instid1(VALU_DEP_1)
	v_lshlrev_b64_e32 v[4:5], 2, v[0:1]
	v_add_co_u32 v4, s1, s4, v4
	s_wait_alu 0xf1ff
	s_delay_alu instid0(VALU_DEP_2)
	v_add_co_ci_u32_e64 v5, s1, s5, v5, s1
	global_load_b32 v4, v[4:5], off offset:6052
	ds_load_b32 v5, v8 offset:6120
	s_wait_dscnt 0x0
	v_lshrrev_b32_e32 v9, 16, v5
	v_sub_f16_e32 v10, v6, v5
	v_add_f16_e32 v5, v5, v6
	s_delay_alu instid0(VALU_DEP_3) | instskip(SKIP_1) | instid1(VALU_DEP_4)
	v_add_f16_e32 v11, v9, v7
	v_sub_f16_e32 v7, v7, v9
	v_mul_f16_e32 v12, 0.5, v10
	s_delay_alu instid0(VALU_DEP_3) | instskip(NEXT) | instid1(VALU_DEP_3)
	v_mul_f16_e32 v6, 0.5, v11
	v_mul_f16_e32 v7, 0.5, v7
	s_wait_loadcnt 0x0
	v_lshrrev_b32_e32 v9, 16, v4
	s_delay_alu instid0(VALU_DEP_1) | instskip(NEXT) | instid1(VALU_DEP_3)
	v_mul_f16_e32 v10, v9, v12
	v_fma_f16 v11, v6, v9, v7
	v_fma_f16 v7, v6, v9, -v7
	s_delay_alu instid0(VALU_DEP_3) | instskip(SKIP_1) | instid1(VALU_DEP_4)
	v_fma_f16 v13, 0.5, v5, v10
	v_fma_f16 v5, v5, 0.5, -v10
	v_fma_f16 v9, -v4, v12, v11
	s_delay_alu instid0(VALU_DEP_4) | instskip(NEXT) | instid1(VALU_DEP_4)
	v_fma_f16 v11, -v4, v12, v7
                                        ; implicit-def: $vgpr7
	v_fmac_f16_e32 v13, v4, v6
	s_delay_alu instid0(VALU_DEP_4)
	v_fma_f16 v10, -v4, v6, v5
	v_dual_mov_b32 v5, v1 :: v_dual_mov_b32 v4, v0
                                        ; implicit-def: $vgpr6
	ds_store_b16 v25, v13
.LBB0_19:
	s_wait_alu 0xfffe
	s_and_not1_saveexec_b32 s1, s2
	s_cbranch_execz .LBB0_21
; %bb.20:
	v_dual_mov_b32 v9, 0 :: v_dual_mov_b32 v4, 0
	v_add_f16_e32 v12, v7, v6
	v_sub_f16_e32 v10, v6, v7
	v_mov_b32_e32 v5, 0
	ds_load_u16 v1, v9 offset:3062
	v_mov_b32_e32 v11, 0
	s_wait_dscnt 0x0
	v_xor_b32_e32 v1, 0x8000, v1
	ds_store_b16 v25, v12
	ds_store_b16 v9, v1 offset:3062
.LBB0_21:
	s_wait_alu 0xfffe
	s_or_b32 exec_lo, exec_lo, s1
	v_lshlrev_b64_e32 v[4:5], 2, v[4:5]
	s_add_nc_u64 s[2:3], s[4:5], 0x17a4
	v_perm_b32 v10, v11, v10, 0x5040100
	s_wait_alu 0xfffe
	s_delay_alu instid0(VALU_DEP_2)
	v_add_co_u32 v6, s1, s2, v4
	s_wait_alu 0xf1ff
	v_add_co_ci_u32_e64 v7, s1, s3, v5, s1
	s_clause 0x5
	global_load_b32 v1, v[6:7], off offset:408
	global_load_b32 v12, v[6:7], off offset:816
	;; [unrolled: 1-line block ×6, first 2 shown]
	ds_store_b16 v25, v9 offset:2
	ds_store_b32 v8, v10 offset:6120
	ds_load_b32 v9, v8 offset:5712
	ds_load_b32 v10, v25 offset:408
	s_wait_dscnt 0x0
	v_pk_add_f16 v16, v10, v9 neg_lo:[0,1] neg_hi:[0,1]
	v_pk_add_f16 v9, v10, v9
	s_delay_alu instid0(VALU_DEP_1) | instskip(SKIP_1) | instid1(VALU_DEP_2)
	v_bfi_b32 v10, 0xffff, v16, v9
	v_bfi_b32 v9, 0xffff, v9, v16
	v_pk_mul_f16 v10, v10, 0.5 op_sel_hi:[1,0]
	s_delay_alu instid0(VALU_DEP_2) | instskip(SKIP_1) | instid1(VALU_DEP_1)
	v_pk_mul_f16 v9, v9, 0.5 op_sel_hi:[1,0]
	s_wait_loadcnt 0x5
	v_pk_fma_f16 v16, v1, v10, v9 op_sel:[1,0,0]
	v_pk_mul_f16 v17, v1, v10 op_sel_hi:[0,1]
	v_pk_fma_f16 v18, v1, v10, v9 op_sel:[1,0,0] neg_lo:[1,0,0] neg_hi:[1,0,0]
	v_pk_fma_f16 v1, v1, v10, v9 op_sel:[1,0,0] neg_lo:[0,0,1] neg_hi:[0,0,1]
	s_delay_alu instid0(VALU_DEP_3) | instskip(SKIP_1) | instid1(VALU_DEP_4)
	v_pk_add_f16 v9, v16, v17 op_sel:[0,1] op_sel_hi:[1,0]
	v_pk_add_f16 v10, v16, v17 op_sel:[0,1] op_sel_hi:[1,0] neg_lo:[0,1] neg_hi:[0,1]
	v_pk_add_f16 v16, v18, v17 op_sel:[0,1] op_sel_hi:[1,0] neg_lo:[0,1] neg_hi:[0,1]
	s_delay_alu instid0(VALU_DEP_4) | instskip(NEXT) | instid1(VALU_DEP_3)
	v_pk_add_f16 v1, v1, v17 op_sel:[0,1] op_sel_hi:[1,0] neg_lo:[0,1] neg_hi:[0,1]
	v_bfi_b32 v9, 0xffff, v9, v10
	s_delay_alu instid0(VALU_DEP_2)
	v_bfi_b32 v1, 0xffff, v16, v1
	ds_store_b32 v25, v9 offset:408
	ds_store_b32 v8, v1 offset:5712
	ds_load_b32 v1, v25 offset:816
	ds_load_b32 v9, v8 offset:5304
	s_wait_dscnt 0x0
	v_pk_add_f16 v10, v1, v9 neg_lo:[0,1] neg_hi:[0,1]
	v_pk_add_f16 v1, v1, v9
	s_delay_alu instid0(VALU_DEP_1) | instskip(SKIP_1) | instid1(VALU_DEP_2)
	v_bfi_b32 v9, 0xffff, v10, v1
	v_bfi_b32 v1, 0xffff, v1, v10
	v_pk_mul_f16 v9, v9, 0.5 op_sel_hi:[1,0]
	s_delay_alu instid0(VALU_DEP_2) | instskip(SKIP_1) | instid1(VALU_DEP_2)
	v_pk_mul_f16 v1, v1, 0.5 op_sel_hi:[1,0]
	s_wait_loadcnt 0x4
	v_pk_mul_f16 v16, v12, v9 op_sel_hi:[0,1]
	s_delay_alu instid0(VALU_DEP_2) | instskip(SKIP_2) | instid1(VALU_DEP_3)
	v_pk_fma_f16 v10, v12, v9, v1 op_sel:[1,0,0]
	v_pk_fma_f16 v17, v12, v9, v1 op_sel:[1,0,0] neg_lo:[1,0,0] neg_hi:[1,0,0]
	v_pk_fma_f16 v1, v12, v9, v1 op_sel:[1,0,0] neg_lo:[0,0,1] neg_hi:[0,0,1]
	v_pk_add_f16 v9, v10, v16 op_sel:[0,1] op_sel_hi:[1,0]
	v_pk_add_f16 v10, v10, v16 op_sel:[0,1] op_sel_hi:[1,0] neg_lo:[0,1] neg_hi:[0,1]
	s_delay_alu instid0(VALU_DEP_4) | instskip(NEXT) | instid1(VALU_DEP_4)
	v_pk_add_f16 v12, v17, v16 op_sel:[0,1] op_sel_hi:[1,0] neg_lo:[0,1] neg_hi:[0,1]
	v_pk_add_f16 v1, v1, v16 op_sel:[0,1] op_sel_hi:[1,0] neg_lo:[0,1] neg_hi:[0,1]
	s_delay_alu instid0(VALU_DEP_3) | instskip(NEXT) | instid1(VALU_DEP_2)
	v_bfi_b32 v9, 0xffff, v9, v10
	v_bfi_b32 v1, 0xffff, v12, v1
	ds_store_b32 v25, v9 offset:816
	ds_store_b32 v8, v1 offset:5304
	ds_load_b32 v1, v25 offset:1224
	ds_load_b32 v9, v8 offset:4896
	s_wait_dscnt 0x0
	v_pk_add_f16 v10, v1, v9 neg_lo:[0,1] neg_hi:[0,1]
	v_pk_add_f16 v1, v1, v9
	s_delay_alu instid0(VALU_DEP_1) | instskip(SKIP_1) | instid1(VALU_DEP_2)
	v_bfi_b32 v9, 0xffff, v10, v1
	v_bfi_b32 v1, 0xffff, v1, v10
	v_pk_mul_f16 v9, v9, 0.5 op_sel_hi:[1,0]
	s_delay_alu instid0(VALU_DEP_2) | instskip(SKIP_1) | instid1(VALU_DEP_2)
	v_pk_mul_f16 v1, v1, 0.5 op_sel_hi:[1,0]
	s_wait_loadcnt 0x3
	v_pk_mul_f16 v12, v13, v9 op_sel_hi:[0,1]
	s_delay_alu instid0(VALU_DEP_2) | instskip(SKIP_2) | instid1(VALU_DEP_3)
	v_pk_fma_f16 v10, v13, v9, v1 op_sel:[1,0,0]
	v_pk_fma_f16 v16, v13, v9, v1 op_sel:[1,0,0] neg_lo:[1,0,0] neg_hi:[1,0,0]
	v_pk_fma_f16 v1, v13, v9, v1 op_sel:[1,0,0] neg_lo:[0,0,1] neg_hi:[0,0,1]
	v_pk_add_f16 v9, v10, v12 op_sel:[0,1] op_sel_hi:[1,0]
	v_pk_add_f16 v10, v10, v12 op_sel:[0,1] op_sel_hi:[1,0] neg_lo:[0,1] neg_hi:[0,1]
	s_delay_alu instid0(VALU_DEP_4) | instskip(NEXT) | instid1(VALU_DEP_4)
	v_pk_add_f16 v13, v16, v12 op_sel:[0,1] op_sel_hi:[1,0] neg_lo:[0,1] neg_hi:[0,1]
	v_pk_add_f16 v1, v1, v12 op_sel:[0,1] op_sel_hi:[1,0] neg_lo:[0,1] neg_hi:[0,1]
	s_delay_alu instid0(VALU_DEP_3) | instskip(NEXT) | instid1(VALU_DEP_2)
	v_bfi_b32 v9, 0xffff, v9, v10
	;; [unrolled: 27-line block ×5, first 2 shown]
	v_bfi_b32 v1, 0xffff, v11, v1
	ds_store_b32 v25, v9 offset:2448
	ds_store_b32 v8, v1 offset:3672
	s_and_saveexec_b32 s1, s0
	s_cbranch_execz .LBB0_23
; %bb.22:
	global_load_b32 v1, v[6:7], off offset:2856
	ds_load_b32 v6, v25 offset:2856
	ds_load_b32 v7, v8 offset:3264
	s_wait_dscnt 0x0
	v_pk_add_f16 v9, v6, v7 neg_lo:[0,1] neg_hi:[0,1]
	v_pk_add_f16 v6, v6, v7
	s_delay_alu instid0(VALU_DEP_1) | instskip(SKIP_1) | instid1(VALU_DEP_2)
	v_bfi_b32 v7, 0xffff, v9, v6
	v_bfi_b32 v6, 0xffff, v6, v9
	v_pk_mul_f16 v7, v7, 0.5 op_sel_hi:[1,0]
	s_delay_alu instid0(VALU_DEP_2) | instskip(SKIP_1) | instid1(VALU_DEP_1)
	v_pk_mul_f16 v6, v6, 0.5 op_sel_hi:[1,0]
	s_wait_loadcnt 0x0
	v_pk_fma_f16 v9, v1, v7, v6 op_sel:[1,0,0]
	v_pk_mul_f16 v10, v1, v7 op_sel_hi:[0,1]
	v_pk_fma_f16 v11, v1, v7, v6 op_sel:[1,0,0] neg_lo:[1,0,0] neg_hi:[1,0,0]
	v_pk_fma_f16 v1, v1, v7, v6 op_sel:[1,0,0] neg_lo:[0,0,1] neg_hi:[0,0,1]
	s_delay_alu instid0(VALU_DEP_3) | instskip(SKIP_1) | instid1(VALU_DEP_4)
	v_pk_add_f16 v6, v9, v10 op_sel:[0,1] op_sel_hi:[1,0]
	v_pk_add_f16 v7, v9, v10 op_sel:[0,1] op_sel_hi:[1,0] neg_lo:[0,1] neg_hi:[0,1]
	v_pk_add_f16 v9, v11, v10 op_sel:[0,1] op_sel_hi:[1,0] neg_lo:[0,1] neg_hi:[0,1]
	s_delay_alu instid0(VALU_DEP_4) | instskip(NEXT) | instid1(VALU_DEP_3)
	v_pk_add_f16 v1, v1, v10 op_sel:[0,1] op_sel_hi:[1,0] neg_lo:[0,1] neg_hi:[0,1]
	v_bfi_b32 v6, 0xffff, v6, v7
	s_delay_alu instid0(VALU_DEP_2)
	v_bfi_b32 v1, 0xffff, v9, v1
	ds_store_b32 v25, v6 offset:2856
	ds_store_b32 v8, v1 offset:3264
.LBB0_23:
	s_wait_alu 0xfffe
	s_or_b32 exec_lo, exec_lo, s1
	global_wb scope:SCOPE_SE
	s_wait_dscnt 0x0
	s_barrier_signal -1
	s_barrier_wait -1
	global_inv scope:SCOPE_SE
	s_and_saveexec_b32 s0, vcc_lo
	s_cbranch_execz .LBB0_26
; %bb.24:
	v_add_nc_u32_e32 v14, 0xc00, v25
	v_add_nc_u32_e32 v1, 0x200, v25
	;; [unrolled: 1-line block ×6, first 2 shown]
	ds_load_2addr_b32 v[6:7], v25 offset1:102
	ds_load_2addr_b32 v[8:9], v1 offset0:76 offset1:178
	ds_load_2addr_b32 v[10:11], v10 offset0:152 offset1:254
	;; [unrolled: 1-line block ×6, first 2 shown]
	ds_load_b32 v20, v25 offset:5712
	v_add_co_u32 v1, vcc_lo, s8, v2
	s_wait_alu 0xfffd
	v_add_co_ci_u32_e32 v2, vcc_lo, s9, v3, vcc_lo
	s_delay_alu instid0(VALU_DEP_2) | instskip(SKIP_1) | instid1(VALU_DEP_2)
	v_add_co_u32 v3, vcc_lo, v1, v4
	s_wait_alu 0xfffd
	v_add_co_ci_u32_e32 v4, vcc_lo, v2, v5, vcc_lo
	v_cmp_eq_u32_e32 vcc_lo, 0x65, v0
	s_wait_dscnt 0x7
	s_clause 0x1
	global_store_b32 v[3:4], v6, off
	global_store_b32 v[3:4], v7, off offset:408
	s_wait_dscnt 0x6
	s_clause 0x1
	global_store_b32 v[3:4], v8, off offset:816
	global_store_b32 v[3:4], v9, off offset:1224
	s_wait_dscnt 0x5
	s_clause 0x1
	global_store_b32 v[3:4], v10, off offset:1632
	;; [unrolled: 4-line block ×6, first 2 shown]
	global_store_b32 v[3:4], v19, off offset:5304
	s_wait_dscnt 0x0
	global_store_b32 v[3:4], v20, off offset:5712
	s_and_b32 exec_lo, exec_lo, vcc_lo
	s_cbranch_execz .LBB0_26
; %bb.25:
	v_mov_b32_e32 v0, 0
	ds_load_b32 v0, v0 offset:6120
	s_wait_dscnt 0x0
	global_store_b32 v[1:2], v0, off offset:6120
.LBB0_26:
	s_nop 0
	s_sendmsg sendmsg(MSG_DEALLOC_VGPRS)
	s_endpgm
	.section	.rodata,"a",@progbits
	.p2align	6, 0x0
	.amdhsa_kernel fft_rtc_back_len1530_factors_17_3_6_5_wgs_102_tpt_102_halfLds_half_ip_CI_unitstride_sbrr_R2C_dirReg
		.amdhsa_group_segment_fixed_size 0
		.amdhsa_private_segment_fixed_size 0
		.amdhsa_kernarg_size 88
		.amdhsa_user_sgpr_count 2
		.amdhsa_user_sgpr_dispatch_ptr 0
		.amdhsa_user_sgpr_queue_ptr 0
		.amdhsa_user_sgpr_kernarg_segment_ptr 1
		.amdhsa_user_sgpr_dispatch_id 0
		.amdhsa_user_sgpr_private_segment_size 0
		.amdhsa_wavefront_size32 1
		.amdhsa_uses_dynamic_stack 0
		.amdhsa_enable_private_segment 0
		.amdhsa_system_sgpr_workgroup_id_x 1
		.amdhsa_system_sgpr_workgroup_id_y 0
		.amdhsa_system_sgpr_workgroup_id_z 0
		.amdhsa_system_sgpr_workgroup_info 0
		.amdhsa_system_vgpr_workitem_id 0
		.amdhsa_next_free_vgpr 168
		.amdhsa_next_free_sgpr 32
		.amdhsa_reserve_vcc 1
		.amdhsa_float_round_mode_32 0
		.amdhsa_float_round_mode_16_64 0
		.amdhsa_float_denorm_mode_32 3
		.amdhsa_float_denorm_mode_16_64 3
		.amdhsa_fp16_overflow 0
		.amdhsa_workgroup_processor_mode 1
		.amdhsa_memory_ordered 1
		.amdhsa_forward_progress 0
		.amdhsa_round_robin_scheduling 0
		.amdhsa_exception_fp_ieee_invalid_op 0
		.amdhsa_exception_fp_denorm_src 0
		.amdhsa_exception_fp_ieee_div_zero 0
		.amdhsa_exception_fp_ieee_overflow 0
		.amdhsa_exception_fp_ieee_underflow 0
		.amdhsa_exception_fp_ieee_inexact 0
		.amdhsa_exception_int_div_zero 0
	.end_amdhsa_kernel
	.text
.Lfunc_end0:
	.size	fft_rtc_back_len1530_factors_17_3_6_5_wgs_102_tpt_102_halfLds_half_ip_CI_unitstride_sbrr_R2C_dirReg, .Lfunc_end0-fft_rtc_back_len1530_factors_17_3_6_5_wgs_102_tpt_102_halfLds_half_ip_CI_unitstride_sbrr_R2C_dirReg
                                        ; -- End function
	.section	.AMDGPU.csdata,"",@progbits
; Kernel info:
; codeLenInByte = 15224
; NumSgprs: 34
; NumVgprs: 168
; ScratchSize: 0
; MemoryBound: 0
; FloatMode: 240
; IeeeMode: 1
; LDSByteSize: 0 bytes/workgroup (compile time only)
; SGPRBlocks: 4
; VGPRBlocks: 20
; NumSGPRsForWavesPerEU: 34
; NumVGPRsForWavesPerEU: 168
; Occupancy: 9
; WaveLimiterHint : 1
; COMPUTE_PGM_RSRC2:SCRATCH_EN: 0
; COMPUTE_PGM_RSRC2:USER_SGPR: 2
; COMPUTE_PGM_RSRC2:TRAP_HANDLER: 0
; COMPUTE_PGM_RSRC2:TGID_X_EN: 1
; COMPUTE_PGM_RSRC2:TGID_Y_EN: 0
; COMPUTE_PGM_RSRC2:TGID_Z_EN: 0
; COMPUTE_PGM_RSRC2:TIDIG_COMP_CNT: 0
	.text
	.p2alignl 7, 3214868480
	.fill 96, 4, 3214868480
	.type	__hip_cuid_c994bbd89ffafaea,@object ; @__hip_cuid_c994bbd89ffafaea
	.section	.bss,"aw",@nobits
	.globl	__hip_cuid_c994bbd89ffafaea
__hip_cuid_c994bbd89ffafaea:
	.byte	0                               ; 0x0
	.size	__hip_cuid_c994bbd89ffafaea, 1

	.ident	"AMD clang version 19.0.0git (https://github.com/RadeonOpenCompute/llvm-project roc-6.4.0 25133 c7fe45cf4b819c5991fe208aaa96edf142730f1d)"
	.section	".note.GNU-stack","",@progbits
	.addrsig
	.addrsig_sym __hip_cuid_c994bbd89ffafaea
	.amdgpu_metadata
---
amdhsa.kernels:
  - .args:
      - .actual_access:  read_only
        .address_space:  global
        .offset:         0
        .size:           8
        .value_kind:     global_buffer
      - .offset:         8
        .size:           8
        .value_kind:     by_value
      - .actual_access:  read_only
        .address_space:  global
        .offset:         16
        .size:           8
        .value_kind:     global_buffer
      - .actual_access:  read_only
        .address_space:  global
        .offset:         24
        .size:           8
        .value_kind:     global_buffer
      - .offset:         32
        .size:           8
        .value_kind:     by_value
      - .actual_access:  read_only
        .address_space:  global
        .offset:         40
        .size:           8
        .value_kind:     global_buffer
      - .actual_access:  read_only
        .address_space:  global
        .offset:         48
        .size:           8
        .value_kind:     global_buffer
      - .offset:         56
        .size:           4
        .value_kind:     by_value
      - .actual_access:  read_only
        .address_space:  global
        .offset:         64
        .size:           8
        .value_kind:     global_buffer
      - .actual_access:  read_only
        .address_space:  global
        .offset:         72
        .size:           8
        .value_kind:     global_buffer
      - .address_space:  global
        .offset:         80
        .size:           8
        .value_kind:     global_buffer
    .group_segment_fixed_size: 0
    .kernarg_segment_align: 8
    .kernarg_segment_size: 88
    .language:       OpenCL C
    .language_version:
      - 2
      - 0
    .max_flat_workgroup_size: 102
    .name:           fft_rtc_back_len1530_factors_17_3_6_5_wgs_102_tpt_102_halfLds_half_ip_CI_unitstride_sbrr_R2C_dirReg
    .private_segment_fixed_size: 0
    .sgpr_count:     34
    .sgpr_spill_count: 0
    .symbol:         fft_rtc_back_len1530_factors_17_3_6_5_wgs_102_tpt_102_halfLds_half_ip_CI_unitstride_sbrr_R2C_dirReg.kd
    .uniform_work_group_size: 1
    .uses_dynamic_stack: false
    .vgpr_count:     168
    .vgpr_spill_count: 0
    .wavefront_size: 32
    .workgroup_processor_mode: 1
amdhsa.target:   amdgcn-amd-amdhsa--gfx1201
amdhsa.version:
  - 1
  - 2
...

	.end_amdgpu_metadata
